;; amdgpu-corpus repo=ROCm/rocFFT kind=compiled arch=gfx1030 opt=O3
	.text
	.amdgcn_target "amdgcn-amd-amdhsa--gfx1030"
	.amdhsa_code_object_version 6
	.protected	fft_rtc_back_len1575_factors_3_3_5_7_5_wgs_63_tpt_63_halfLds_half_op_CI_CI_unitstride_sbrr_dirReg ; -- Begin function fft_rtc_back_len1575_factors_3_3_5_7_5_wgs_63_tpt_63_halfLds_half_op_CI_CI_unitstride_sbrr_dirReg
	.globl	fft_rtc_back_len1575_factors_3_3_5_7_5_wgs_63_tpt_63_halfLds_half_op_CI_CI_unitstride_sbrr_dirReg
	.p2align	8
	.type	fft_rtc_back_len1575_factors_3_3_5_7_5_wgs_63_tpt_63_halfLds_half_op_CI_CI_unitstride_sbrr_dirReg,@function
fft_rtc_back_len1575_factors_3_3_5_7_5_wgs_63_tpt_63_halfLds_half_op_CI_CI_unitstride_sbrr_dirReg: ; @fft_rtc_back_len1575_factors_3_3_5_7_5_wgs_63_tpt_63_halfLds_half_op_CI_CI_unitstride_sbrr_dirReg
; %bb.0:
	s_clause 0x2
	s_load_dwordx4 s[12:15], s[4:5], 0x0
	s_load_dwordx4 s[8:11], s[4:5], 0x58
	;; [unrolled: 1-line block ×3, first 2 shown]
	v_mul_u32_u24_e32 v1, 0x411, v0
	v_mov_b32_e32 v7, 0
	v_mov_b32_e32 v5, 0
	;; [unrolled: 1-line block ×3, first 2 shown]
	v_add_nc_u32_sdwa v9, s6, v1 dst_sel:DWORD dst_unused:UNUSED_PAD src0_sel:DWORD src1_sel:WORD_1
	v_mov_b32_e32 v10, v7
	s_waitcnt lgkmcnt(0)
	v_cmp_lt_u64_e64 s0, s[14:15], 2
	s_and_b32 vcc_lo, exec_lo, s0
	s_cbranch_vccnz .LBB0_8
; %bb.1:
	s_load_dwordx2 s[0:1], s[4:5], 0x10
	v_mov_b32_e32 v5, 0
	v_mov_b32_e32 v6, 0
	s_add_u32 s2, s18, 8
	s_addc_u32 s3, s19, 0
	v_mov_b32_e32 v1, v5
	s_add_u32 s6, s16, 8
	v_mov_b32_e32 v2, v6
	s_addc_u32 s7, s17, 0
	s_mov_b64 s[22:23], 1
	s_waitcnt lgkmcnt(0)
	s_add_u32 s20, s0, 8
	s_addc_u32 s21, s1, 0
.LBB0_2:                                ; =>This Inner Loop Header: Depth=1
	s_load_dwordx2 s[24:25], s[20:21], 0x0
                                        ; implicit-def: $vgpr3_vgpr4
	s_mov_b32 s0, exec_lo
	s_waitcnt lgkmcnt(0)
	v_or_b32_e32 v8, s25, v10
	v_cmpx_ne_u64_e32 0, v[7:8]
	s_xor_b32 s1, exec_lo, s0
	s_cbranch_execz .LBB0_4
; %bb.3:                                ;   in Loop: Header=BB0_2 Depth=1
	v_cvt_f32_u32_e32 v3, s24
	v_cvt_f32_u32_e32 v4, s25
	s_sub_u32 s0, 0, s24
	s_subb_u32 s26, 0, s25
	v_fmac_f32_e32 v3, 0x4f800000, v4
	v_rcp_f32_e32 v3, v3
	v_mul_f32_e32 v3, 0x5f7ffffc, v3
	v_mul_f32_e32 v4, 0x2f800000, v3
	v_trunc_f32_e32 v4, v4
	v_fmac_f32_e32 v3, 0xcf800000, v4
	v_cvt_u32_f32_e32 v4, v4
	v_cvt_u32_f32_e32 v3, v3
	v_mul_lo_u32 v8, s0, v4
	v_mul_hi_u32 v11, s0, v3
	v_mul_lo_u32 v12, s26, v3
	v_add_nc_u32_e32 v8, v11, v8
	v_mul_lo_u32 v11, s0, v3
	v_add_nc_u32_e32 v8, v8, v12
	v_mul_hi_u32 v12, v3, v11
	v_mul_lo_u32 v13, v3, v8
	v_mul_hi_u32 v14, v3, v8
	v_mul_hi_u32 v15, v4, v11
	v_mul_lo_u32 v11, v4, v11
	v_mul_hi_u32 v16, v4, v8
	v_mul_lo_u32 v8, v4, v8
	v_add_co_u32 v12, vcc_lo, v12, v13
	v_add_co_ci_u32_e32 v13, vcc_lo, 0, v14, vcc_lo
	v_add_co_u32 v11, vcc_lo, v12, v11
	v_add_co_ci_u32_e32 v11, vcc_lo, v13, v15, vcc_lo
	v_add_co_ci_u32_e32 v12, vcc_lo, 0, v16, vcc_lo
	v_add_co_u32 v8, vcc_lo, v11, v8
	v_add_co_ci_u32_e32 v11, vcc_lo, 0, v12, vcc_lo
	v_add_co_u32 v3, vcc_lo, v3, v8
	v_add_co_ci_u32_e32 v4, vcc_lo, v4, v11, vcc_lo
	v_mul_hi_u32 v8, s0, v3
	v_mul_lo_u32 v12, s26, v3
	v_mul_lo_u32 v11, s0, v4
	v_add_nc_u32_e32 v8, v8, v11
	v_mul_lo_u32 v11, s0, v3
	v_add_nc_u32_e32 v8, v8, v12
	v_mul_hi_u32 v12, v3, v11
	v_mul_lo_u32 v13, v3, v8
	v_mul_hi_u32 v14, v3, v8
	v_mul_hi_u32 v15, v4, v11
	v_mul_lo_u32 v11, v4, v11
	v_mul_hi_u32 v16, v4, v8
	v_mul_lo_u32 v8, v4, v8
	v_add_co_u32 v12, vcc_lo, v12, v13
	v_add_co_ci_u32_e32 v13, vcc_lo, 0, v14, vcc_lo
	v_add_co_u32 v11, vcc_lo, v12, v11
	v_add_co_ci_u32_e32 v11, vcc_lo, v13, v15, vcc_lo
	v_add_co_ci_u32_e32 v12, vcc_lo, 0, v16, vcc_lo
	v_add_co_u32 v8, vcc_lo, v11, v8
	v_add_co_ci_u32_e32 v11, vcc_lo, 0, v12, vcc_lo
	v_add_co_u32 v8, vcc_lo, v3, v8
	v_add_co_ci_u32_e32 v13, vcc_lo, v4, v11, vcc_lo
	v_mul_hi_u32 v15, v9, v8
	v_mad_u64_u32 v[11:12], null, v10, v8, 0
	v_mad_u64_u32 v[3:4], null, v9, v13, 0
	;; [unrolled: 1-line block ×3, first 2 shown]
	v_add_co_u32 v3, vcc_lo, v15, v3
	v_add_co_ci_u32_e32 v4, vcc_lo, 0, v4, vcc_lo
	v_add_co_u32 v3, vcc_lo, v3, v11
	v_add_co_ci_u32_e32 v3, vcc_lo, v4, v12, vcc_lo
	v_add_co_ci_u32_e32 v4, vcc_lo, 0, v14, vcc_lo
	v_add_co_u32 v8, vcc_lo, v3, v13
	v_add_co_ci_u32_e32 v11, vcc_lo, 0, v4, vcc_lo
	v_mul_lo_u32 v12, s25, v8
	v_mad_u64_u32 v[3:4], null, s24, v8, 0
	v_mul_lo_u32 v13, s24, v11
	v_sub_co_u32 v3, vcc_lo, v9, v3
	v_add3_u32 v4, v4, v13, v12
	v_sub_nc_u32_e32 v12, v10, v4
	v_subrev_co_ci_u32_e64 v12, s0, s25, v12, vcc_lo
	v_add_co_u32 v13, s0, v8, 2
	v_add_co_ci_u32_e64 v14, s0, 0, v11, s0
	v_sub_co_u32 v15, s0, v3, s24
	v_sub_co_ci_u32_e32 v4, vcc_lo, v10, v4, vcc_lo
	v_subrev_co_ci_u32_e64 v12, s0, 0, v12, s0
	v_cmp_le_u32_e32 vcc_lo, s24, v15
	v_cmp_eq_u32_e64 s0, s25, v4
	v_cndmask_b32_e64 v15, 0, -1, vcc_lo
	v_cmp_le_u32_e32 vcc_lo, s25, v12
	v_cndmask_b32_e64 v16, 0, -1, vcc_lo
	v_cmp_le_u32_e32 vcc_lo, s24, v3
	;; [unrolled: 2-line block ×3, first 2 shown]
	v_cndmask_b32_e64 v17, 0, -1, vcc_lo
	v_cmp_eq_u32_e32 vcc_lo, s25, v12
	v_cndmask_b32_e64 v3, v17, v3, s0
	v_cndmask_b32_e32 v12, v16, v15, vcc_lo
	v_add_co_u32 v15, vcc_lo, v8, 1
	v_add_co_ci_u32_e32 v16, vcc_lo, 0, v11, vcc_lo
	v_cmp_ne_u32_e32 vcc_lo, 0, v12
	v_cndmask_b32_e32 v4, v16, v14, vcc_lo
	v_cndmask_b32_e32 v12, v15, v13, vcc_lo
	v_cmp_ne_u32_e32 vcc_lo, 0, v3
	v_cndmask_b32_e32 v4, v11, v4, vcc_lo
	v_cndmask_b32_e32 v3, v8, v12, vcc_lo
.LBB0_4:                                ;   in Loop: Header=BB0_2 Depth=1
	s_andn2_saveexec_b32 s0, s1
	s_cbranch_execz .LBB0_6
; %bb.5:                                ;   in Loop: Header=BB0_2 Depth=1
	v_cvt_f32_u32_e32 v3, s24
	s_sub_i32 s1, 0, s24
	v_rcp_iflag_f32_e32 v3, v3
	v_mul_f32_e32 v3, 0x4f7ffffe, v3
	v_cvt_u32_f32_e32 v3, v3
	v_mul_lo_u32 v4, s1, v3
	v_mul_hi_u32 v4, v3, v4
	v_add_nc_u32_e32 v3, v3, v4
	v_mul_hi_u32 v3, v9, v3
	v_mul_lo_u32 v4, v3, s24
	v_add_nc_u32_e32 v8, 1, v3
	v_sub_nc_u32_e32 v4, v9, v4
	v_subrev_nc_u32_e32 v11, s24, v4
	v_cmp_le_u32_e32 vcc_lo, s24, v4
	v_cndmask_b32_e32 v4, v4, v11, vcc_lo
	v_cndmask_b32_e32 v3, v3, v8, vcc_lo
	v_cmp_le_u32_e32 vcc_lo, s24, v4
	v_add_nc_u32_e32 v8, 1, v3
	v_mov_b32_e32 v4, v7
	v_cndmask_b32_e32 v3, v3, v8, vcc_lo
.LBB0_6:                                ;   in Loop: Header=BB0_2 Depth=1
	s_or_b32 exec_lo, exec_lo, s0
	v_mul_lo_u32 v8, v4, s24
	v_mul_lo_u32 v13, v3, s25
	s_load_dwordx2 s[0:1], s[6:7], 0x0
	v_mad_u64_u32 v[11:12], null, v3, s24, 0
	s_load_dwordx2 s[24:25], s[2:3], 0x0
	s_add_u32 s22, s22, 1
	s_addc_u32 s23, s23, 0
	s_add_u32 s2, s2, 8
	s_addc_u32 s3, s3, 0
	s_add_u32 s6, s6, 8
	v_add3_u32 v8, v12, v13, v8
	v_sub_co_u32 v9, vcc_lo, v9, v11
	s_addc_u32 s7, s7, 0
	s_add_u32 s20, s20, 8
	v_sub_co_ci_u32_e32 v8, vcc_lo, v10, v8, vcc_lo
	s_addc_u32 s21, s21, 0
	s_waitcnt lgkmcnt(0)
	v_mul_lo_u32 v10, s0, v8
	v_mul_lo_u32 v11, s1, v9
	v_mad_u64_u32 v[5:6], null, s0, v9, v[5:6]
	v_mul_lo_u32 v8, s24, v8
	v_mul_lo_u32 v12, s25, v9
	v_mad_u64_u32 v[1:2], null, s24, v9, v[1:2]
	v_cmp_ge_u64_e64 s0, s[22:23], s[14:15]
	v_add3_u32 v6, v11, v6, v10
	v_add3_u32 v2, v12, v2, v8
	s_and_b32 vcc_lo, exec_lo, s0
	s_cbranch_vccnz .LBB0_9
; %bb.7:                                ;   in Loop: Header=BB0_2 Depth=1
	v_mov_b32_e32 v10, v4
	v_mov_b32_e32 v9, v3
	s_branch .LBB0_2
.LBB0_8:
	v_mov_b32_e32 v1, v5
	v_mov_b32_e32 v3, v9
	;; [unrolled: 1-line block ×4, first 2 shown]
.LBB0_9:
	s_load_dwordx2 s[0:1], s[4:5], 0x28
	v_mul_hi_u32 v25, 0x4104105, v0
	s_lshl_b64 s[4:5], s[14:15], 3
                                        ; implicit-def: $vgpr9
	s_add_u32 s2, s18, s4
	s_addc_u32 s3, s19, s5
	s_waitcnt lgkmcnt(0)
	v_cmp_gt_u64_e32 vcc_lo, s[0:1], v[3:4]
	v_cmp_le_u64_e64 s0, s[0:1], v[3:4]
	s_and_saveexec_b32 s1, s0
	s_xor_b32 s0, exec_lo, s1
; %bb.10:
	v_mul_u32_u24_e32 v5, 63, v25
                                        ; implicit-def: $vgpr25
	v_sub_nc_u32_e32 v9, v0, v5
                                        ; implicit-def: $vgpr0
                                        ; implicit-def: $vgpr5_vgpr6
; %bb.11:
	s_or_saveexec_b32 s1, s0
	s_load_dwordx2 s[2:3], s[2:3], 0x0
                                        ; implicit-def: $vgpr7
                                        ; implicit-def: $vgpr16
                                        ; implicit-def: $vgpr75
                                        ; implicit-def: $vgpr60
                                        ; implicit-def: $vgpr68
                                        ; implicit-def: $vgpr61
                                        ; implicit-def: $vgpr74
                                        ; implicit-def: $vgpr52
                                        ; implicit-def: $vgpr73
                                        ; implicit-def: $vgpr51
                                        ; implicit-def: $vgpr71
                                        ; implicit-def: $vgpr55
                                        ; implicit-def: $vgpr8
                                        ; implicit-def: $vgpr17
                                        ; implicit-def: $vgpr65
                                        ; implicit-def: $vgpr32
                                        ; implicit-def: $vgpr66
                                        ; implicit-def: $vgpr30
                                        ; implicit-def: $vgpr31
                                        ; implicit-def: $vgpr20
                                        ; implicit-def: $vgpr67
                                        ; implicit-def: $vgpr13
                                        ; implicit-def: $vgpr34
                                        ; implicit-def: $vgpr19
                                        ; implicit-def: $vgpr53
                                        ; implicit-def: $vgpr21
                                        ; implicit-def: $vgpr63
                                        ; implicit-def: $vgpr10
                                        ; implicit-def: $vgpr62
                                        ; implicit-def: $vgpr12
                                        ; implicit-def: $vgpr28
                                        ; implicit-def: $vgpr14
                                        ; implicit-def: $vgpr18
                                        ; implicit-def: $vgpr26
                                        ; implicit-def: $vgpr15
                                        ; implicit-def: $vgpr11
                                        ; implicit-def: $vgpr69
                                        ; implicit-def: $vgpr29
                                        ; implicit-def: $vgpr72
                                        ; implicit-def: $vgpr27
                                        ; implicit-def: $vgpr70
                                        ; implicit-def: $vgpr33
                                        ; implicit-def: $vgpr76
                                        ; implicit-def: $vgpr54
                                        ; implicit-def: $vgpr58
                                        ; implicit-def: $vgpr22
                                        ; implicit-def: $vgpr77
                                        ; implicit-def: $vgpr59
                                        ; implicit-def: $vgpr56
                                        ; implicit-def: $vgpr23
                                        ; implicit-def: $vgpr78
                                        ; implicit-def: $vgpr64
                                        ; implicit-def: $vgpr57
                                        ; implicit-def: $vgpr24
	s_xor_b32 exec_lo, exec_lo, s1
	s_cbranch_execz .LBB0_15
; %bb.12:
	s_add_u32 s4, s16, s4
	s_addc_u32 s5, s17, s5
	v_lshlrev_b64 v[5:6], 2, v[5:6]
	s_load_dwordx2 s[4:5], s[4:5], 0x0
                                        ; implicit-def: $vgpr15
                                        ; implicit-def: $vgpr26
                                        ; implicit-def: $vgpr18
                                        ; implicit-def: $vgpr14
                                        ; implicit-def: $vgpr28
	s_waitcnt lgkmcnt(0)
	v_mul_lo_u32 v9, s5, v3
	v_mul_lo_u32 v10, s4, v4
	v_mad_u64_u32 v[7:8], null, s4, v3, 0
	s_mov_b32 s4, exec_lo
	v_add3_u32 v8, v8, v10, v9
	v_mul_u32_u24_e32 v9, 63, v25
	v_lshlrev_b64 v[7:8], 2, v[7:8]
	v_sub_nc_u32_e32 v9, v0, v9
	v_add_co_u32 v0, s0, s8, v7
	v_add_co_ci_u32_e64 v7, s0, s9, v8, s0
	v_lshlrev_b32_e32 v8, 2, v9
	v_add_co_u32 v0, s0, v0, v5
	v_add_co_ci_u32_e64 v6, s0, v7, v6, s0
	v_add_co_u32 v5, s0, v0, v8
	v_add_co_ci_u32_e64 v6, s0, 0, v6, s0
	v_add_co_u32 v10, s0, 0x800, v5
	v_add_co_ci_u32_e64 v11, s0, 0, v6, s0
	v_add_co_u32 v7, s0, 0x1000, v5
	v_add_co_ci_u32_e64 v8, s0, 0, v6, s0
	s_clause 0x17
	global_load_dword v16, v[5:6], off
	global_load_dword v24, v[5:6], off offset:252
	global_load_dword v23, v[5:6], off offset:504
	;; [unrolled: 1-line block ×23, first 2 shown]
                                        ; implicit-def: $vgpr11
	v_cmpx_gt_u32_e32 21, v9
	s_cbranch_execz .LBB0_14
; %bb.13:
	v_add_co_u32 v25, s0, 0x1800, v5
	v_add_co_ci_u32_e64 v26, s0, 0, v6, s0
	s_clause 0x2
	global_load_dword v11, v[5:6], off offset:2016
	global_load_dword v14, v[7:8], off offset:20
	;; [unrolled: 1-line block ×3, first 2 shown]
	s_waitcnt vmcnt(2)
	v_lshrrev_b32_e32 v15, 16, v11
	s_waitcnt vmcnt(1)
	v_lshrrev_b32_e32 v28, 16, v14
	;; [unrolled: 2-line block ×3, first 2 shown]
.LBB0_14:
	s_or_b32 exec_lo, exec_lo, s4
	s_waitcnt vmcnt(23)
	v_lshrrev_b32_e32 v7, 16, v16
	s_waitcnt vmcnt(15)
	v_lshrrev_b32_e32 v75, 16, v60
	;; [unrolled: 2-line block ×3, first 2 shown]
	v_lshrrev_b32_e32 v57, 16, v24
	v_lshrrev_b32_e32 v74, 16, v52
	s_waitcnt vmcnt(6)
	v_lshrrev_b32_e32 v78, 16, v64
	v_lshrrev_b32_e32 v56, 16, v23
	v_lshrrev_b32_e32 v73, 16, v51
	s_waitcnt vmcnt(5)
	v_lshrrev_b32_e32 v71, 16, v55
	;; [unrolled: 4-line block ×7, first 2 shown]
.LBB0_15:
	s_or_b32 exec_lo, exec_lo, s1
	v_add_f16_e32 v6, v64, v52
	v_add_f16_e32 v0, v60, v61
	;; [unrolled: 1-line block ×4, first 2 shown]
	v_sub_f16_e32 v25, v75, v68
	v_fmac_f16_e32 v24, -0.5, v6
	v_add_f16_e32 v6, v51, v55
	v_fmac_f16_e32 v16, -0.5, v0
	v_sub_f16_e32 v0, v74, v78
	v_add_f16_e32 v38, v23, v51
	v_add_f16_e32 v37, v59, v32
	v_fmac_f16_e32 v23, -0.5, v6
	v_sub_f16_e32 v6, v73, v71
	v_fmamk_f16 v36, v25, 0xbaee, v16
	v_fmac_f16_e32 v16, 0x3aee, v25
	v_fmamk_f16 v25, v0, 0xbaee, v24
	v_fmac_f16_e32 v24, 0x3aee, v0
	;; [unrolled: 2-line block ×3, first 2 shown]
	v_add_f16_e32 v6, v33, v13
	v_add_f16_e32 v40, v54, v30
	;; [unrolled: 1-line block ×5, first 2 shown]
	v_fmac_f16_e32 v20, -0.5, v6
	v_add_f16_e32 v6, v29, v27
	v_add_f16_e32 v39, v59, v17
	v_fmac_f16_e32 v17, -0.5, v37
	v_sub_f16_e32 v37, v77, v65
	v_add_f16_e32 v42, v54, v22
	v_fmac_f16_e32 v22, -0.5, v40
	v_sub_f16_e32 v40, v76, v66
	v_sub_f16_e32 v44, v67, v70
	v_add_f16_e32 v45, v27, v19
	v_fmac_f16_e32 v19, -0.5, v6
	v_sub_f16_e32 v6, v72, v69
	v_add_f16_e32 v49, v14, v11
	v_fmac_f16_e32 v11, -0.5, v48
	v_sub_f16_e32 v48, v28, v18
	v_add_f16_e32 v79, v5, v61
	v_mad_u32_u24 v5, v9, 6, 0
	v_add_f16_e32 v47, v21, v10
	v_fmac_f16_e32 v21, -0.5, v46
	v_sub_f16_e32 v46, v63, v62
	v_add_f16_e32 v35, v64, v35
	v_fmamk_f16 v41, v37, 0xbaee, v17
	v_fmac_f16_e32 v17, 0x3aee, v37
	v_fmamk_f16 v37, v40, 0xbaee, v22
	v_fmac_f16_e32 v22, 0x3aee, v40
	;; [unrolled: 2-line block ×5, first 2 shown]
	ds_write_b16 v5, v79
	ds_write_b16 v5, v36 offset:2
	ds_write_b16 v5, v16 offset:4
	;; [unrolled: 1-line block ×4, first 2 shown]
	v_add_f16_e32 v35, v39, v32
	v_add_f16_e32 v16, v26, v49
	v_add_nc_u32_e32 v79, 0x46e, v5
	v_cmp_gt_u32_e64 s0, 21, v9
	v_add_f16_e32 v25, v38, v55
	v_add_f16_e32 v36, v42, v30
	;; [unrolled: 1-line block ×3, first 2 shown]
	v_fmamk_f16 v50, v46, 0xbaee, v21
	v_fmac_f16_e32 v21, 0x3aee, v46
	v_add_f16_e32 v38, v43, v33
	v_add_f16_e32 v39, v29, v45
	ds_write_b16 v5, v24 offset:382
	ds_write_b16 v5, v25 offset:756
	;; [unrolled: 1-line block ×19, first 2 shown]
	s_and_saveexec_b32 s1, s0
	s_cbranch_execz .LBB0_17
; %bb.16:
	ds_write_b16 v79, v16 offset:1890
	ds_write_b16 v79, v6 offset:1892
	;; [unrolled: 1-line block ×3, first 2 shown]
.LBB0_17:
	s_or_b32 exec_lo, exec_lo, s1
	v_lshl_add_u32 v0, v9, 1, 0
	s_waitcnt lgkmcnt(0)
	s_barrier
	buffer_gl0_inv
	ds_read_u16 v17, v0
	ds_read_u16 v19, v0 offset:126
	ds_read_u16 v20, v0 offset:252
	;; [unrolled: 1-line block ×23, first 2 shown]
	s_and_saveexec_b32 s1, s0
	s_cbranch_execz .LBB0_19
; %bb.18:
	ds_read_u16 v16, v0 offset:1008
	ds_read_u16 v6, v0 offset:2058
	;; [unrolled: 1-line block ×3, first 2 shown]
.LBB0_19:
	s_or_b32 exec_lo, exec_lo, s1
	v_add_f16_e32 v80, v75, v68
	v_add_f16_e32 v75, v7, v75
	v_sub_f16_e32 v60, v60, v61
	v_add_f16_e32 v61, v78, v74
	v_add_f16_e32 v74, v57, v74
	v_fmac_f16_e32 v7, -0.5, v80
	v_add_f16_e32 v80, v73, v71
	v_sub_f16_e32 v52, v52, v64
	v_fmac_f16_e32 v57, -0.5, v61
	v_add_f16_e32 v64, v56, v73
	v_sub_f16_e32 v51, v51, v55
	v_fmac_f16_e32 v56, -0.5, v80
	v_add_f16_e32 v73, v77, v8
	v_fmamk_f16 v55, v52, 0x3aee, v57
	v_fmac_f16_e32 v57, 0xbaee, v52
	v_add_f16_e32 v64, v64, v71
	v_add_f16_e32 v52, v77, v65
	v_fmamk_f16 v71, v51, 0x3aee, v56
	v_fmac_f16_e32 v56, 0xbaee, v51
	v_add_f16_e32 v51, v76, v66
	v_sub_f16_e32 v32, v59, v32
	v_fmac_f16_e32 v8, -0.5, v52
	v_add_f16_e32 v52, v76, v58
	v_sub_f16_e32 v30, v54, v30
	v_fmac_f16_e32 v58, -0.5, v51
	v_add_f16_e32 v59, v73, v65
	v_fmamk_f16 v51, v32, 0x3aee, v8
	v_fmac_f16_e32 v8, 0xbaee, v32
	v_add_f16_e32 v32, v52, v66
	v_add_f16_e32 v52, v70, v67
	v_fmamk_f16 v54, v30, 0x3aee, v58
	v_fmac_f16_e32 v58, 0xbaee, v30
	v_add_f16_e32 v30, v69, v72
	v_add_f16_e32 v65, v31, v67
	v_fmac_f16_e32 v31, -0.5, v52
	v_add_f16_e32 v52, v72, v34
	v_sub_f16_e32 v27, v27, v29
	v_fmac_f16_e32 v34, -0.5, v30
	v_sub_f16_e32 v13, v13, v33
	v_add_f16_e32 v33, v65, v70
	v_add_f16_e32 v30, v63, v62
	v_sub_f16_e32 v10, v10, v12
	v_fmamk_f16 v65, v27, 0x3aee, v34
	v_fmac_f16_e32 v34, 0xbaee, v27
	v_add_f16_e32 v27, v28, v18
	v_fmamk_f16 v29, v13, 0x3aee, v31
	v_fmac_f16_e32 v31, 0xbaee, v13
	v_add_f16_e32 v13, v69, v52
	v_add_f16_e32 v52, v53, v63
	;; [unrolled: 1-line block ×3, first 2 shown]
	v_fmac_f16_e32 v15, -0.5, v27
	v_sub_f16_e32 v14, v14, v26
	v_add_f16_e32 v68, v75, v68
	v_fmac_f16_e32 v53, -0.5, v30
	v_add_f16_e32 v26, v52, v62
	v_add_f16_e32 v18, v18, v12
	v_fmamk_f16 v52, v14, 0x3aee, v15
	v_fmac_f16_e32 v15, 0xbaee, v14
	v_fmamk_f16 v61, v60, 0x3aee, v7
	v_fmac_f16_e32 v7, 0xbaee, v60
	v_add_f16_e32 v60, v78, v74
	v_fmamk_f16 v27, v10, 0x3aee, v53
	v_fmac_f16_e32 v53, 0xbaee, v10
	s_waitcnt lgkmcnt(0)
	s_barrier
	buffer_gl0_inv
	ds_write_b16 v5, v68
	ds_write_b16 v5, v61 offset:2
	ds_write_b16 v5, v7 offset:4
	;; [unrolled: 1-line block ×23, first 2 shown]
	s_and_saveexec_b32 s1, s0
	s_cbranch_execz .LBB0_21
; %bb.20:
	ds_write_b16 v79, v18 offset:1890
	ds_write_b16 v79, v52 offset:1892
	;; [unrolled: 1-line block ×3, first 2 shown]
.LBB0_21:
	s_or_b32 exec_lo, exec_lo, s1
	s_waitcnt lgkmcnt(0)
	s_barrier
	buffer_gl0_inv
	ds_read_u16 v27, v0
	ds_read_u16 v28, v0 offset:126
	ds_read_u16 v29, v0 offset:252
	;; [unrolled: 1-line block ×23, first 2 shown]
	s_and_saveexec_b32 s1, s0
	s_cbranch_execz .LBB0_23
; %bb.22:
	ds_read_u16 v18, v0 offset:1008
	ds_read_u16 v52, v0 offset:2058
	;; [unrolled: 1-line block ×3, first 2 shown]
.LBB0_23:
	s_or_b32 exec_lo, exec_lo, s1
	v_and_b32_e32 v26, 0xff, v9
	v_add_nc_u32_e32 v5, 0xfc, v9
	v_mov_b32_e32 v10, 0xaaab
	v_add_nc_u32_e32 v13, 0x13b, v9
	v_add_nc_u32_e32 v14, 0x17a, v9
	v_mul_lo_u16 v12, 0xab, v26
	v_add_nc_u32_e32 v51, 0x1b9, v9
	v_mul_u32_u24_sdwa v69, v5, v10 dst_sel:DWORD dst_unused:UNUSED_PAD src0_sel:WORD_0 src1_sel:DWORD
	v_mul_u32_u24_sdwa v72, v13, v10 dst_sel:DWORD dst_unused:UNUSED_PAD src0_sel:WORD_0 src1_sel:DWORD
	;; [unrolled: 1-line block ×3, first 2 shown]
	v_lshrrev_b16 v70, 9, v12
	v_add_nc_u32_e32 v71, 0x1f8, v9
	v_lshrrev_b32_e32 v69, 17, v69
	v_lshrrev_b32_e32 v72, 17, v72
	;; [unrolled: 1-line block ×3, first 2 shown]
	v_mul_lo_u16 v74, v70, 3
	v_mov_b32_e32 v73, 3
	v_mul_lo_u16 v76, v69, 3
	v_mul_lo_u16 v78, v72, 3
	v_mul_u32_u24_sdwa v77, v51, v10 dst_sel:DWORD dst_unused:UNUSED_PAD src0_sel:WORD_0 src1_sel:DWORD
	v_sub_nc_u16 v74, v9, v74
	v_mul_u32_u24_sdwa v10, v71, v10 dst_sel:DWORD dst_unused:UNUSED_PAD src0_sel:WORD_0 src1_sel:DWORD
	v_sub_nc_u16 v76, v5, v76
	v_sub_nc_u16 v78, v13, v78
	v_mul_lo_u16 v13, v75, 3
	v_lshlrev_b32_sdwa v79, v73, v74 dst_sel:DWORD dst_unused:UNUSED_PAD src0_sel:DWORD src1_sel:BYTE_0
	v_add_nc_u32_e32 v7, 63, v9
	v_lshlrev_b32_sdwa v81, v73, v76 dst_sel:DWORD dst_unused:UNUSED_PAD src0_sel:DWORD src1_sel:WORD_0
	v_lshrrev_b32_e32 v77, 17, v77
	v_sub_nc_u16 v82, v14, v13
	v_lshlrev_b32_sdwa v13, v73, v78 dst_sel:DWORD dst_unused:UNUSED_PAD src0_sel:DWORD src1_sel:WORD_0
	s_clause 0x1
	global_load_dwordx2 v[91:92], v79, s[12:13]
	global_load_dwordx2 v[93:94], v81, s[12:13]
	v_and_b32_e32 v12, 0xff, v7
	v_add_nc_u32_e32 v8, 0x7e, v9
	global_load_dwordx2 v[95:96], v13, s[12:13]
	v_lshrrev_b32_e32 v79, 17, v10
	v_mul_lo_u16 v10, v77, 3
	v_mul_lo_u16 v80, 0xab, v12
	v_and_b32_e32 v14, 0xff, v8
	v_mov_b32_e32 v88, 1
	v_mul_lo_u16 v81, v79, 3
	v_sub_nc_u16 v83, v51, v10
	v_lshlrev_b32_sdwa v10, v73, v82 dst_sel:DWORD dst_unused:UNUSED_PAD src0_sel:DWORD src1_sel:WORD_0
	v_mul_u32_u24_e32 v72, 18, v72
	v_mul_u32_u24_e32 v75, 18, v75
	v_sub_nc_u16 v51, v71, v81
	v_lshrrev_b16 v71, 9, v80
	global_load_dwordx2 v[97:98], v10, s[12:13]
	v_lshlrev_b32_sdwa v13, v73, v83 dst_sel:DWORD dst_unused:UNUSED_PAD src0_sel:DWORD src1_sel:WORD_0
	v_add_nc_u32_e32 v10, 0xbd, v9
	v_lshlrev_b32_sdwa v80, v73, v51 dst_sel:DWORD dst_unused:UNUSED_PAD src0_sel:DWORD src1_sel:WORD_0
	v_mul_lo_u16 v81, 0xab, v14
	v_mul_u32_u24_e32 v77, 18, v77
	s_clause 0x1
	global_load_dwordx2 v[99:100], v13, s[12:13]
	global_load_dwordx2 v[101:102], v80, s[12:13]
	v_and_b32_e32 v13, 0xff, v10
	v_mul_lo_u16 v80, v71, 3
	v_lshrrev_b16 v81, 9, v81
	v_mul_lo_u16 v84, 0xab, v13
	v_sub_nc_u16 v80, v7, v80
	v_mul_lo_u16 v85, v81, 3
	v_lshrrev_b16 v84, 9, v84
	v_lshlrev_b32_sdwa v86, v73, v80 dst_sel:DWORD dst_unused:UNUSED_PAD src0_sel:DWORD src1_sel:BYTE_0
	v_sub_nc_u16 v85, v8, v85
	v_lshlrev_b32_sdwa v80, v88, v80 dst_sel:DWORD dst_unused:UNUSED_PAD src0_sel:DWORD src1_sel:BYTE_0
	v_mul_lo_u16 v87, v84, 3
	global_load_dwordx2 v[103:104], v86, s[12:13]
	v_lshlrev_b32_sdwa v86, v73, v85 dst_sel:DWORD dst_unused:UNUSED_PAD src0_sel:DWORD src1_sel:BYTE_0
	v_sub_nc_u16 v87, v10, v87
	global_load_dwordx2 v[105:106], v86, s[12:13]
	v_lshlrev_b32_sdwa v73, v73, v87 dst_sel:DWORD dst_unused:UNUSED_PAD src0_sel:DWORD src1_sel:BYTE_0
	global_load_dwordx2 v[107:108], v73, s[12:13]
	v_mov_b32_e32 v73, 18
	v_mul_u32_u24_e32 v86, 18, v69
	v_mul_lo_u16 v69, v79, 9
	s_waitcnt vmcnt(0) lgkmcnt(0)
	s_barrier
	v_mul_u32_u24_sdwa v70, v70, v73 dst_sel:DWORD dst_unused:UNUSED_PAD src0_sel:WORD_0 src1_sel:DWORD
	v_mul_u32_u24_sdwa v79, v71, v73 dst_sel:DWORD dst_unused:UNUSED_PAD src0_sel:WORD_0 src1_sel:DWORD
	;; [unrolled: 1-line block ×4, first 2 shown]
	v_lshlrev_b32_sdwa v73, v88, v76 dst_sel:DWORD dst_unused:UNUSED_PAD src0_sel:DWORD src1_sel:WORD_0
	v_lshlrev_b32_sdwa v71, v88, v74 dst_sel:DWORD dst_unused:UNUSED_PAD src0_sel:DWORD src1_sel:BYTE_0
	v_lshlrev_b32_sdwa v76, v88, v78 dst_sel:DWORD dst_unused:UNUSED_PAD src0_sel:DWORD src1_sel:WORD_0
	v_lshlrev_b32_sdwa v78, v88, v82 dst_sel:DWORD dst_unused:UNUSED_PAD src0_sel:DWORD src1_sel:WORD_0
	;; [unrolled: 1-line block ×3, first 2 shown]
	v_lshlrev_b32_sdwa v83, v88, v85 dst_sel:DWORD dst_unused:UNUSED_PAD src0_sel:DWORD src1_sel:BYTE_0
	v_lshlrev_b32_sdwa v85, v88, v87 dst_sel:DWORD dst_unused:UNUSED_PAD src0_sel:DWORD src1_sel:BYTE_0
	v_add3_u32 v73, 0, v86, v73
	v_add3_u32 v74, 0, v70, v71
	;; [unrolled: 1-line block ×8, first 2 shown]
	buffer_gl0_inv
	v_mul_f16_sdwa v89, v64, v91 dst_sel:DWORD dst_unused:UNUSED_PAD src0_sel:DWORD src1_sel:WORD_1
	v_mul_f16_sdwa v109, v46, v91 dst_sel:DWORD dst_unused:UNUSED_PAD src0_sel:DWORD src1_sel:WORD_1
	;; [unrolled: 1-line block ×12, first 2 shown]
	v_fmac_f16_e32 v89, v46, v91
	v_fma_f16 v91, v64, v91, -v109
	v_fma_f16 v64, v65, v93, -v111
	v_fmac_f16_e32 v86, v50, v94
	v_fma_f16 v50, v63, v95, -v113
	v_mul_f16_sdwa v82, v61, v97 dst_sel:DWORD dst_unused:UNUSED_PAD src0_sel:DWORD src1_sel:WORD_1
	v_mul_f16_sdwa v115, v43, v97 dst_sel:DWORD dst_unused:UNUSED_PAD src0_sel:DWORD src1_sel:WORD_1
	;; [unrolled: 1-line block ×4, first 2 shown]
	v_fmac_f16_e32 v90, v49, v92
	v_fmac_f16_e32 v85, v47, v93
	v_mul_f16_sdwa v117, v41, v99 dst_sel:DWORD dst_unused:UNUSED_PAD src0_sel:DWORD src1_sel:WORD_1
	v_mul_f16_sdwa v78, v59, v99 dst_sel:DWORD dst_unused:UNUSED_PAD src0_sel:DWORD src1_sel:WORD_1
	;; [unrolled: 1-line block ×7, first 2 shown]
	v_fma_f16 v47, v68, v94, -v112
	v_fmac_f16_e32 v87, v48, v96
	v_fmac_f16_e32 v82, v43, v97
	v_fma_f16 v46, v61, v97, -v115
	v_fmac_f16_e32 v83, v44, v98
	v_fma_f16 v44, v62, v98, -v116
	v_fma_f16 v43, v59, v99, -v117
	v_fmac_f16_e32 v80, v6, v101
	v_fmac_f16_e32 v81, v11, v102
	v_mul_f16_sdwa v118, v42, v100 dst_sel:DWORD dst_unused:UNUSED_PAD src0_sel:DWORD src1_sel:WORD_1
	v_fma_f16 v67, v67, v92, -v110
	v_fmac_f16_e32 v84, v45, v95
	v_mul_f16_sdwa v63, v55, v103 dst_sel:DWORD dst_unused:UNUSED_PAD src0_sel:DWORD src1_sel:WORD_1
	v_mul_f16_sdwa v65, v58, v104 dst_sel:DWORD dst_unused:UNUSED_PAD src0_sel:DWORD src1_sel:WORD_1
	v_fma_f16 v45, v66, v96, -v114
	v_mul_f16_sdwa v66, v37, v103 dst_sel:DWORD dst_unused:UNUSED_PAD src0_sel:DWORD src1_sel:WORD_1
	v_mul_f16_sdwa v68, v40, v104 dst_sel:DWORD dst_unused:UNUSED_PAD src0_sel:DWORD src1_sel:WORD_1
	v_fmac_f16_e32 v78, v41, v99
	v_mul_f16_sdwa v48, v54, v105 dst_sel:DWORD dst_unused:UNUSED_PAD src0_sel:DWORD src1_sel:WORD_1
	v_mul_f16_sdwa v62, v57, v106 dst_sel:DWORD dst_unused:UNUSED_PAD src0_sel:DWORD src1_sel:WORD_1
	;; [unrolled: 1-line block ×3, first 2 shown]
	v_fmac_f16_e32 v79, v42, v100
	v_fmac_f16_e32 v63, v37, v103
	;; [unrolled: 1-line block ×3, first 2 shown]
	v_mul_f16_sdwa v93, v39, v106 dst_sel:DWORD dst_unused:UNUSED_PAD src0_sel:DWORD src1_sel:WORD_1
	v_fma_f16 v52, v52, v101, -v119
	v_mul_f16_sdwa v61, v53, v107 dst_sel:DWORD dst_unused:UNUSED_PAD src0_sel:DWORD src1_sel:WORD_1
	v_mul_f16_sdwa v94, v35, v107 dst_sel:DWORD dst_unused:UNUSED_PAD src0_sel:DWORD src1_sel:WORD_1
	;; [unrolled: 1-line block ×4, first 2 shown]
	v_fma_f16 v49, v15, v102, -v120
	v_fmac_f16_e32 v48, v36, v105
	v_fmac_f16_e32 v62, v39, v106
	;; [unrolled: 1-line block ×3, first 2 shown]
	v_fma_f16 v35, v53, v107, -v94
	v_fmac_f16_e32 v59, v38, v108
	v_add_f16_e32 v6, v17, v89
	v_add_f16_e32 v11, v89, v90
	;; [unrolled: 1-line block ×3, first 2 shown]
	v_fma_f16 v41, v60, v100, -v118
	v_fma_f16 v42, v55, v103, -v66
	;; [unrolled: 1-line block ×5, first 2 shown]
	v_add_f16_e32 v53, v85, v86
	v_add_f16_e32 v56, v84, v87
	;; [unrolled: 1-line block ×5, first 2 shown]
	v_fma_f16 v36, v57, v106, -v93
	v_sub_f16_e32 v38, v91, v67
	v_add_f16_e32 v55, v23, v84
	v_add_f16_e32 v58, v24, v82
	v_sub_f16_e32 v95, v52, v49
	v_add_f16_e32 v96, v6, v90
	v_fmac_f16_e32 v17, -0.5, v11
	v_add_f16_e32 v11, v19, v63
	v_add_f16_e32 v100, v48, v62
	;; [unrolled: 1-line block ×3, first 2 shown]
	v_fma_f16 v6, -0.5, v94, v16
	v_add_f16_e32 v39, v22, v85
	v_sub_f16_e32 v54, v64, v47
	v_sub_f16_e32 v57, v50, v45
	;; [unrolled: 1-line block ×3, first 2 shown]
	v_add_f16_e32 v68, v25, v78
	v_sub_f16_e32 v93, v43, v41
	v_sub_f16_e32 v98, v42, v40
	v_fmac_f16_e32 v22, -0.5, v53
	v_fmac_f16_e32 v23, -0.5, v56
	;; [unrolled: 1-line block ×5, first 2 shown]
	v_add_f16_e32 v99, v20, v48
	v_sub_f16_e32 v101, v37, v36
	v_add_f16_e32 v102, v21, v61
	v_sub_f16_e32 v104, v35, v15
	v_add_f16_e32 v53, v55, v87
	v_add_f16_e32 v55, v58, v83
	v_fmamk_f16 v58, v38, 0xbaee, v17
	v_fmac_f16_e32 v17, 0x3aee, v38
	v_add_f16_e32 v38, v11, v65
	v_fmac_f16_e32 v20, -0.5, v100
	v_fmac_f16_e32 v21, -0.5, v103
	v_fmamk_f16 v11, v95, 0xbaee, v6
	v_fmac_f16_e32 v6, 0x3aee, v95
	v_fmamk_f16 v92, v54, 0xbaee, v22
	v_fmac_f16_e32 v22, 0x3aee, v54
	;; [unrolled: 2-line block ×6, first 2 shown]
	v_add_f16_e32 v39, v39, v86
	v_add_f16_e32 v56, v68, v79
	;; [unrolled: 1-line block ×4, first 2 shown]
	ds_write_b16 v74, v96
	v_fmamk_f16 v94, v101, 0xbaee, v20
	v_fmac_f16_e32 v20, 0x3aee, v101
	v_fmamk_f16 v95, v104, 0xbaee, v21
	v_fmac_f16_e32 v21, 0x3aee, v104
	ds_write_b16 v74, v58 offset:6
	ds_write_b16 v74, v17 offset:12
	ds_write_b16 v77, v38
	ds_write_b16 v77, v93 offset:6
	ds_write_b16 v77, v19 offset:12
	ds_write_b16 v76, v60
	ds_write_b16 v76, v94 offset:6
	ds_write_b16 v76, v20 offset:12
	ds_write_b16 v75, v68
	ds_write_b16 v75, v95 offset:6
	ds_write_b16 v75, v21 offset:12
	ds_write_b16 v73, v39
	ds_write_b16 v73, v92 offset:6
	ds_write_b16 v73, v22 offset:12
	ds_write_b16 v72, v53
	ds_write_b16 v72, v54 offset:6
	ds_write_b16 v72, v23 offset:12
	ds_write_b16 v71, v55
	ds_write_b16 v71, v57 offset:6
	ds_write_b16 v71, v24 offset:12
	ds_write_b16 v70, v56
	ds_write_b16 v70, v66 offset:6
	ds_write_b16 v70, v25 offset:12
	s_and_saveexec_b32 s1, s0
	s_cbranch_execz .LBB0_25
; %bb.24:
	v_add_f16_e32 v16, v16, v80
	v_lshlrev_b32_sdwa v17, v88, v51 dst_sel:DWORD dst_unused:UNUSED_PAD src0_sel:DWORD src1_sel:WORD_0
	v_lshlrev_b32_sdwa v19, v88, v69 dst_sel:DWORD dst_unused:UNUSED_PAD src0_sel:DWORD src1_sel:WORD_0
	v_add_f16_e32 v16, v16, v81
	v_add3_u32 v17, 0, v17, v19
	ds_write_b16 v17, v16
	ds_write_b16 v17, v11 offset:6
	ds_write_b16 v17, v6 offset:12
.LBB0_25:
	s_or_b32 exec_lo, exec_lo, s1
	v_add_f16_e32 v16, v91, v67
	v_add_f16_e32 v17, v27, v91
	v_sub_f16_e32 v19, v89, v90
	v_sub_f16_e32 v21, v63, v65
	v_add_f16_e32 v20, v42, v40
	v_fmac_f16_e32 v27, -0.5, v16
	v_add_f16_e32 v16, v28, v42
	v_add_f16_e32 v25, v17, v67
	;; [unrolled: 1-line block ×3, first 2 shown]
	v_fmac_f16_e32 v28, -0.5, v20
	v_fmamk_f16 v53, v19, 0x3aee, v27
	v_fmac_f16_e32 v27, 0xbaee, v19
	v_add_f16_e32 v54, v16, v40
	v_add_f16_e32 v16, v37, v36
	;; [unrolled: 1-line block ×5, first 2 shown]
	v_sub_f16_e32 v20, v80, v81
	v_fmac_f16_e32 v29, -0.5, v16
	v_sub_f16_e32 v16, v48, v62
	v_fmac_f16_e32 v30, -0.5, v19
	v_sub_f16_e32 v19, v61, v59
	v_add_f16_e32 v61, v17, v15
	v_add_f16_e32 v15, v64, v47
	v_fmamk_f16 v59, v16, 0x3aee, v29
	v_fmac_f16_e32 v29, 0xbaee, v16
	v_add_f16_e32 v16, v31, v64
	v_add_f16_e32 v17, v50, v45
	v_fmac_f16_e32 v31, -0.5, v15
	v_sub_f16_e32 v15, v85, v86
	v_fmamk_f16 v62, v19, 0x3aee, v30
	v_add_f16_e32 v63, v16, v47
	v_add_f16_e32 v16, v32, v50
	v_fmac_f16_e32 v32, -0.5, v17
	v_sub_f16_e32 v17, v84, v87
	v_fmamk_f16 v64, v15, 0x3aee, v31
	v_fmac_f16_e32 v31, 0xbaee, v15
	v_add_f16_e32 v15, v33, v46
	v_fmac_f16_e32 v30, 0xbaee, v19
	v_add_f16_e32 v19, v46, v44
	v_fmamk_f16 v66, v17, 0x3aee, v32
	v_fmac_f16_e32 v32, 0xbaee, v17
	v_add_f16_e32 v17, v43, v41
	v_add_f16_e32 v67, v15, v44
	;; [unrolled: 1-line block ×4, first 2 shown]
	v_fmac_f16_e32 v33, -0.5, v19
	v_sub_f16_e32 v16, v82, v83
	v_add_f16_e32 v19, v34, v43
	v_fmac_f16_e32 v34, -0.5, v17
	v_sub_f16_e32 v17, v78, v79
	v_fma_f16 v15, -0.5, v15, v18
	v_fmamk_f16 v58, v21, 0x3aee, v28
	v_fmac_f16_e32 v28, 0xbaee, v21
	v_fmamk_f16 v68, v16, 0x3aee, v33
	v_fmac_f16_e32 v33, 0xbaee, v16
	v_add_f16_e32 v78, v19, v41
	v_fmamk_f16 v79, v17, 0x3aee, v34
	v_fmac_f16_e32 v34, 0xbaee, v17
	v_fmamk_f16 v16, v20, 0x3aee, v15
	v_fmac_f16_e32 v15, 0xbaee, v20
	s_waitcnt lgkmcnt(0)
	s_barrier
	buffer_gl0_inv
	ds_read_u16 v41, v0 offset:756
	ds_read_u16 v36, v0 offset:882
	ds_read_u16 v35, v0
	ds_read_u16 v24, v0 offset:126
	ds_read_u16 v22, v0 offset:252
	;; [unrolled: 1-line block ×22, first 2 shown]
	s_waitcnt lgkmcnt(0)
	s_barrier
	buffer_gl0_inv
	ds_write_b16 v74, v25
	ds_write_b16 v74, v53 offset:6
	ds_write_b16 v74, v27 offset:12
	ds_write_b16 v77, v54
	ds_write_b16 v77, v58 offset:6
	ds_write_b16 v77, v28 offset:12
	;; [unrolled: 3-line block ×8, first 2 shown]
	s_and_saveexec_b32 s1, s0
	s_cbranch_execz .LBB0_27
; %bb.26:
	v_mov_b32_e32 v25, 1
	v_add_f16_e32 v18, v18, v52
	v_lshlrev_b32_sdwa v27, v25, v51 dst_sel:DWORD dst_unused:UNUSED_PAD src0_sel:DWORD src1_sel:WORD_0
	v_lshlrev_b32_sdwa v25, v25, v69 dst_sel:DWORD dst_unused:UNUSED_PAD src0_sel:DWORD src1_sel:WORD_0
	v_add_f16_e32 v18, v18, v49
	v_add3_u32 v25, 0, v27, v25
	ds_write_b16 v25, v18
	ds_write_b16 v25, v16 offset:6
	ds_write_b16 v25, v15 offset:12
.LBB0_27:
	s_or_b32 exec_lo, exec_lo, s1
	v_mul_lo_u16 v18, v26, 57
	s_waitcnt lgkmcnt(0)
	s_barrier
	buffer_gl0_inv
	v_mov_b32_e32 v69, 0x5a
	v_lshrrev_b16 v33, 9, v18
	v_mul_lo_u16 v18, v12, 57
	v_mov_b32_e32 v70, 1
	v_cmp_gt_u32_e64 s0, 36, v9
	v_mul_lo_u16 v25, v33, 9
	v_lshrrev_b16 v34, 9, v18
	v_mov_b32_e32 v18, 4
	v_mul_u32_u24_sdwa v33, v33, v69 dst_sel:DWORD dst_unused:UNUSED_PAD src0_sel:WORD_0 src1_sel:DWORD
	v_sub_nc_u16 v49, v9, v25
	v_mul_lo_u16 v25, v14, 57
	v_mul_lo_u16 v26, v34, 9
	v_mul_u32_u24_sdwa v34, v34, v69 dst_sel:DWORD dst_unused:UNUSED_PAD src0_sel:WORD_0 src1_sel:DWORD
	v_lshlrev_b32_sdwa v27, v18, v49 dst_sel:DWORD dst_unused:UNUSED_PAD src0_sel:DWORD src1_sel:BYTE_0
	v_lshrrev_b16 v51, 9, v25
	v_mul_lo_u16 v25, v13, 57
	v_sub_nc_u16 v52, v7, v26
	v_lshlrev_b32_sdwa v49, v70, v49 dst_sel:DWORD dst_unused:UNUSED_PAD src0_sel:DWORD src1_sel:BYTE_0
	global_load_dwordx4 v[29:32], v27, s[12:13] offset:24
	v_mul_lo_u16 v26, v51, 9
	v_lshrrev_b16 v53, 9, v25
	v_mul_u32_u24_sdwa v51, v51, v69 dst_sel:DWORD dst_unused:UNUSED_PAD src0_sel:WORD_0 src1_sel:DWORD
	v_sub_nc_u16 v54, v8, v26
	v_mul_lo_u16 v25, v53, 9
	v_mul_u32_u24_sdwa v69, v53, v69 dst_sel:DWORD dst_unused:UNUSED_PAD src0_sel:WORD_0 src1_sel:DWORD
	v_lshlrev_b32_sdwa v26, v18, v54 dst_sel:DWORD dst_unused:UNUSED_PAD src0_sel:DWORD src1_sel:BYTE_0
	v_sub_nc_u16 v66, v10, v25
	v_lshlrev_b32_sdwa v71, v70, v54 dst_sel:DWORD dst_unused:UNUSED_PAD src0_sel:DWORD src1_sel:BYTE_0
	v_add3_u32 v54, 0, v33, v49
	global_load_dwordx4 v[62:65], v26, s[12:13] offset:24
	v_lshlrev_b32_sdwa v25, v18, v66 dst_sel:DWORD dst_unused:UNUSED_PAD src0_sel:DWORD src1_sel:BYTE_0
	v_lshlrev_b32_sdwa v66, v70, v66 dst_sel:DWORD dst_unused:UNUSED_PAD src0_sel:DWORD src1_sel:BYTE_0
	global_load_dwordx4 v[94:97], v25, s[12:13] offset:24
	v_mov_b32_e32 v25, 0xe38f
	v_lshlrev_b32_sdwa v27, v18, v52 dst_sel:DWORD dst_unused:UNUSED_PAD src0_sel:DWORD src1_sel:BYTE_0
	v_lshlrev_b32_sdwa v52, v70, v52 dst_sel:DWORD dst_unused:UNUSED_PAD src0_sel:DWORD src1_sel:BYTE_0
	v_mul_u32_u24_sdwa v25, v5, v25 dst_sel:DWORD dst_unused:UNUSED_PAD src0_sel:WORD_0 src1_sel:DWORD
	global_load_dwordx4 v[58:61], v27, s[12:13] offset:24
	v_add3_u32 v53, 0, v34, v52
	v_add3_u32 v52, 0, v51, v71
	;; [unrolled: 1-line block ×3, first 2 shown]
	v_lshrrev_b32_e32 v67, 19, v25
	v_mul_lo_u16 v25, v67, 9
	v_mul_u32_u24_e32 v67, 0x5a, v67
	v_sub_nc_u16 v68, v5, v25
	v_lshlrev_b32_sdwa v18, v18, v68 dst_sel:DWORD dst_unused:UNUSED_PAD src0_sel:DWORD src1_sel:WORD_0
	v_lshlrev_b32_sdwa v33, v70, v68 dst_sel:DWORD dst_unused:UNUSED_PAD src0_sel:DWORD src1_sel:WORD_0
	global_load_dwordx4 v[98:101], v18, s[12:13] offset:24
	ds_read_u16 v74, v0 offset:882
	ds_read_u16 v28, v0
	ds_read_u16 v27, v0 offset:126
	ds_read_u16 v26, v0 offset:252
	;; [unrolled: 1-line block ×23, first 2 shown]
	v_add3_u32 v49, 0, v67, v33
	s_waitcnt vmcnt(0) lgkmcnt(0)
	s_barrier
	buffer_gl0_inv
	v_mul_f16_sdwa v86, v83, v29 dst_sel:DWORD dst_unused:UNUSED_PAD src0_sel:DWORD src1_sel:WORD_1
	v_mul_f16_sdwa v87, v90, v30 dst_sel:DWORD dst_unused:UNUSED_PAD src0_sel:DWORD src1_sel:WORD_1
	;; [unrolled: 1-line block ×8, first 2 shown]
	v_fmac_f16_e32 v86, v55, v29
	v_fmac_f16_e32 v87, v57, v30
	v_fma_f16 v93, v90, v30, -v34
	v_fmac_f16_e32 v88, v50, v31
	v_fma_f16 v91, v84, v31, -v91
	;; [unrolled: 2-line block ×3, first 2 shown]
	v_fma_f16 v92, v83, v29, -v33
	v_mul_f16_sdwa v72, v74, v62 dst_sel:DWORD dst_unused:UNUSED_PAD src0_sel:DWORD src1_sel:WORD_1
	v_mul_f16_sdwa v118, v36, v62 dst_sel:DWORD dst_unused:UNUSED_PAD src0_sel:DWORD src1_sel:WORD_1
	;; [unrolled: 1-line block ×21, first 2 shown]
	v_fmac_f16_e32 v80, v41, v58
	v_fmac_f16_e32 v78, v46, v59
	;; [unrolled: 1-line block ×3, first 2 shown]
	v_fma_f16 v84, v76, v60, -v116
	v_fmac_f16_e32 v81, v48, v61
	v_fmac_f16_e32 v72, v36, v62
	v_fma_f16 v74, v74, v62, -v118
	v_fmac_f16_e32 v70, v43, v63
	v_fmac_f16_e32 v71, v44, v64
	v_fma_f16 v76, v77, v64, -v120
	v_fmac_f16_e32 v73, v45, v65
	v_fma_f16 v77, v105, v65, -v121
	v_fmac_f16_e32 v68, v37, v94
	v_mul_f16_sdwa v119, v43, v63 dst_sel:DWORD dst_unused:UNUSED_PAD src0_sel:DWORD src1_sel:WORD_1
	v_mul_f16_sdwa v124, v40, v96 dst_sel:DWORD dst_unused:UNUSED_PAD src0_sel:DWORD src1_sel:WORD_1
	;; [unrolled: 1-line block ×10, first 2 shown]
	v_fmac_f16_e32 v66, v39, v95
	v_fmac_f16_e32 v67, v40, v96
	;; [unrolled: 1-line block ×3, first 2 shown]
	v_mul_f16_sdwa v29, v38, v98 dst_sel:DWORD dst_unused:UNUSED_PAD src0_sel:DWORD src1_sel:WORD_1
	v_fma_f16 v82, v82, v58, -v114
	v_fma_f16 v83, v85, v59, -v115
	;; [unrolled: 1-line block ×5, first 2 shown]
	v_fmac_f16_e32 v62, v38, v98
	v_fmac_f16_e32 v55, v19, v99
	v_fma_f16 v58, v107, v99, -v30
	v_fmac_f16_e32 v60, v23, v100
	v_fma_f16 v59, v111, v100, -v31
	;; [unrolled: 2-line block ×3, first 2 shown]
	v_add_f16_e32 v19, v35, v86
	v_add_f16_e32 v21, v87, v88
	v_sub_f16_e32 v30, v86, v87
	v_sub_f16_e32 v31, v89, v88
	v_add_f16_e32 v32, v86, v89
	v_sub_f16_e32 v33, v87, v86
	v_sub_f16_e32 v34, v88, v89
	v_add_f16_e32 v36, v24, v80
	v_add_f16_e32 v37, v78, v79
	v_sub_f16_e32 v40, v80, v78
	v_sub_f16_e32 v41, v81, v79
	v_add_f16_e32 v42, v80, v81
	v_sub_f16_e32 v94, v72, v70
	v_sub_f16_e32 v95, v73, v71
	v_add_f16_e32 v99, v20, v68
	v_fma_f16 v75, v75, v63, -v119
	v_fma_f16 v63, v104, v96, -v124
	;; [unrolled: 1-line block ×4, first 2 shown]
	v_sub_f16_e32 v43, v78, v80
	v_sub_f16_e32 v44, v79, v81
	v_add_f16_e32 v46, v70, v71
	v_add_f16_e32 v96, v72, v73
	v_sub_f16_e32 v97, v70, v72
	v_sub_f16_e32 v98, v71, v73
	v_add_f16_e32 v100, v66, v67
	v_sub_f16_e32 v103, v68, v66
	v_sub_f16_e32 v104, v69, v67
	;; [unrolled: 1-line block ×4, first 2 shown]
	v_add_f16_e32 v45, v22, v72
	v_add_f16_e32 v105, v68, v69
	v_sub_f16_e32 v106, v66, v68
	v_sub_f16_e32 v107, v67, v69
	v_add_f16_e32 v19, v19, v87
	v_fma_f16 v108, -0.5, v21, v35
	v_add_f16_e32 v30, v30, v31
	v_fmac_f16_e32 v35, -0.5, v32
	v_add_f16_e32 v31, v33, v34
	v_add_f16_e32 v21, v36, v78
	v_fma_f16 v32, -0.5, v37, v24
	v_add_f16_e32 v33, v40, v41
	v_fmac_f16_e32 v24, -0.5, v42
	v_add_f16_e32 v40, v94, v95
	v_add_f16_e32 v42, v99, v66
	;; [unrolled: 1-line block ×4, first 2 shown]
	v_sub_f16_e32 v38, v82, v85
	v_sub_f16_e32 v39, v83, v84
	;; [unrolled: 1-line block ×5, first 2 shown]
	v_add_f16_e32 v34, v43, v44
	v_fma_f16 v37, -0.5, v46, v22
	v_fmac_f16_e32 v22, -0.5, v96
	v_add_f16_e32 v41, v97, v98
	v_fma_f16 v43, -0.5, v100, v20
	v_add_f16_e32 v44, v103, v104
	v_add_f16_e32 v46, v17, v62
	v_sub_f16_e32 v97, v62, v55
	v_sub_f16_e32 v98, v65, v60
	;; [unrolled: 1-line block ×5, first 2 shown]
	v_add_f16_e32 v36, v45, v70
	v_fmac_f16_e32 v20, -0.5, v105
	v_add_f16_e32 v45, v106, v107
	v_sub_f16_e32 v95, v57, v56
	v_sub_f16_e32 v96, v58, v59
	v_add_f16_e32 v19, v19, v88
	v_fmamk_f16 v104, v23, 0xbb9c, v108
	v_fmac_f16_e32 v108, 0x3b9c, v23
	v_fmamk_f16 v105, v29, 0x3b9c, v35
	v_fmac_f16_e32 v35, 0xbb9c, v29
	v_add_f16_e32 v106, v21, v79
	v_fma_f16 v21, -0.5, v94, v17
	v_fmac_f16_e32 v17, -0.5, v99
	v_fmamk_f16 v107, v38, 0xbb9c, v32
	v_fmac_f16_e32 v32, 0x3b9c, v38
	v_fmamk_f16 v109, v39, 0x3b9c, v24
	v_fmac_f16_e32 v24, 0xbb9c, v39
	v_add_f16_e32 v97, v97, v98
	v_fmamk_f16 v98, v47, 0xbb9c, v37
	v_fmac_f16_e32 v37, 0x3b9c, v47
	v_fmamk_f16 v94, v48, 0x3b9c, v22
	v_fmac_f16_e32 v22, 0xbb9c, v48
	v_add_f16_e32 v99, v100, v103
	v_fmamk_f16 v100, v101, 0xbb9c, v43
	v_fmac_f16_e32 v43, 0x3b9c, v101
	v_add_f16_e32 v46, v46, v55
	v_fmamk_f16 v103, v102, 0x3b9c, v20
	v_fmac_f16_e32 v20, 0xbb9c, v102
	v_fmac_f16_e32 v104, 0xb8b4, v29
	;; [unrolled: 1-line block ×3, first 2 shown]
	v_add_f16_e32 v29, v19, v89
	v_fmac_f16_e32 v105, 0xb8b4, v23
	v_fmac_f16_e32 v35, 0x38b4, v23
	v_fmamk_f16 v19, v95, 0xbb9c, v21
	v_fmac_f16_e32 v21, 0x3b9c, v95
	v_fmamk_f16 v23, v96, 0x3b9c, v17
	v_fmac_f16_e32 v17, 0xbb9c, v96
	v_add_f16_e32 v36, v36, v71
	v_add_f16_e32 v42, v42, v67
	v_fmac_f16_e32 v107, 0xb8b4, v39
	v_fmac_f16_e32 v32, 0x38b4, v39
	;; [unrolled: 1-line block ×6, first 2 shown]
	v_add_f16_e32 v39, v46, v60
	v_fmac_f16_e32 v109, 0xb8b4, v38
	v_fmac_f16_e32 v98, 0xb8b4, v48
	;; [unrolled: 1-line block ×14, first 2 shown]
	v_add_f16_e32 v106, v106, v81
	v_add_f16_e32 v36, v36, v73
	;; [unrolled: 1-line block ×3, first 2 shown]
	v_fmac_f16_e32 v32, 0x34f2, v33
	v_fmac_f16_e32 v24, 0x34f2, v34
	;; [unrolled: 1-line block ×5, first 2 shown]
	v_add_f16_e32 v30, v39, v65
	v_fmac_f16_e32 v107, 0x34f2, v33
	v_fmac_f16_e32 v109, 0x34f2, v34
	;; [unrolled: 1-line block ×7, first 2 shown]
	ds_write_b16 v54, v29
	v_fmac_f16_e32 v19, 0x34f2, v97
	v_fmac_f16_e32 v21, 0x34f2, v97
	;; [unrolled: 1-line block ×4, first 2 shown]
	ds_write_b16 v54, v104 offset:18
	ds_write_b16 v54, v105 offset:36
	ds_write_b16 v54, v35 offset:54
	ds_write_b16 v54, v108 offset:72
	ds_write_b16 v53, v106
	ds_write_b16 v53, v107 offset:18
	ds_write_b16 v53, v109 offset:36
	ds_write_b16 v53, v24 offset:54
	ds_write_b16 v53, v32 offset:72
	ds_write_b16 v52, v36
	;; [unrolled: 5-line block ×4, first 2 shown]
	ds_write_b16 v49, v19 offset:18
	ds_write_b16 v49, v23 offset:36
	;; [unrolled: 1-line block ×4, first 2 shown]
	s_waitcnt lgkmcnt(0)
	s_barrier
	buffer_gl0_inv
	ds_read_u16 v42, v0
	ds_read_u16 v22, v0 offset:126
	ds_read_u16 v30, v0 offset:2376
	;; [unrolled: 1-line block ×20, first 2 shown]
                                        ; implicit-def: $vgpr29
	s_and_saveexec_b32 s1, s0
	s_cbranch_execz .LBB0_29
; %bb.28:
	ds_read_u16 v19, v0 offset:378
	ds_read_u16 v23, v0 offset:828
	;; [unrolled: 1-line block ×7, first 2 shown]
.LBB0_29:
	s_or_b32 exec_lo, exec_lo, s1
	v_add_f16_e32 v20, v93, v91
	v_add_f16_e32 v94, v28, v92
	v_sub_f16_e32 v86, v86, v89
	v_sub_f16_e32 v87, v87, v88
	;; [unrolled: 1-line block ×3, first 2 shown]
	v_fma_f16 v89, -0.5, v20, v28
	v_sub_f16_e32 v20, v90, v91
	v_add_f16_e32 v95, v92, v90
	v_sub_f16_e32 v92, v93, v92
	v_add_f16_e32 v93, v94, v93
	v_fmamk_f16 v94, v86, 0x3b9c, v89
	v_sub_f16_e32 v96, v91, v90
	v_add_f16_e32 v20, v88, v20
	v_fmac_f16_e32 v89, 0xbb9c, v86
	v_add_f16_e32 v88, v93, v91
	v_fmac_f16_e32 v94, 0x38b4, v87
	v_add_f16_e32 v93, v83, v84
	v_fmac_f16_e32 v28, -0.5, v95
	v_fmac_f16_e32 v89, 0xb8b4, v87
	v_add_f16_e32 v88, v88, v90
	v_add_f16_e32 v90, v92, v96
	v_add_f16_e32 v92, v27, v82
	v_fmac_f16_e32 v94, 0x34f2, v20
	v_fma_f16 v93, -0.5, v93, v27
	v_sub_f16_e32 v80, v80, v81
	v_fmac_f16_e32 v89, 0x34f2, v20
	v_add_f16_e32 v20, v92, v83
	v_fmamk_f16 v91, v87, 0xbb9c, v28
	v_fmac_f16_e32 v28, 0x3b9c, v87
	v_fmamk_f16 v81, v80, 0x3b9c, v93
	v_sub_f16_e32 v78, v78, v79
	v_sub_f16_e32 v79, v82, v83
	;; [unrolled: 1-line block ×3, first 2 shown]
	v_add_f16_e32 v92, v82, v85
	v_add_f16_e32 v20, v20, v84
	v_fmac_f16_e32 v93, 0xbb9c, v80
	v_fmac_f16_e32 v91, 0x38b4, v86
	;; [unrolled: 1-line block ×4, first 2 shown]
	v_add_f16_e32 v79, v79, v87
	v_fmac_f16_e32 v27, -0.5, v92
	v_add_f16_e32 v86, v20, v85
	v_sub_f16_e32 v20, v83, v82
	v_sub_f16_e32 v82, v84, v85
	v_fmac_f16_e32 v93, 0xb8b4, v78
	v_add_f16_e32 v83, v26, v74
	v_add_f16_e32 v84, v75, v76
	v_fmac_f16_e32 v81, 0x34f2, v79
	v_fmamk_f16 v87, v78, 0xbb9c, v27
	v_add_f16_e32 v20, v20, v82
	v_fmac_f16_e32 v27, 0x3b9c, v78
	v_add_f16_e32 v78, v83, v75
	v_fma_f16 v82, -0.5, v84, v26
	v_sub_f16_e32 v72, v72, v73
	v_fmac_f16_e32 v93, 0x34f2, v79
	v_add_f16_e32 v79, v74, v77
	v_fmac_f16_e32 v87, 0x38b4, v80
	v_fmac_f16_e32 v27, 0xb8b4, v80
	v_add_f16_e32 v73, v78, v76
	v_fmamk_f16 v78, v72, 0x3b9c, v82
	v_sub_f16_e32 v70, v70, v71
	v_sub_f16_e32 v71, v74, v75
	;; [unrolled: 1-line block ×3, first 2 shown]
	v_fmac_f16_e32 v26, -0.5, v79
	v_fmac_f16_e32 v82, 0xbb9c, v72
	v_fmac_f16_e32 v87, 0x34f2, v20
	;; [unrolled: 1-line block ×4, first 2 shown]
	v_add_f16_e32 v20, v71, v80
	v_fmamk_f16 v71, v70, 0xbb9c, v26
	v_sub_f16_e32 v74, v75, v74
	v_sub_f16_e32 v75, v76, v77
	v_fmac_f16_e32 v82, 0xb8b4, v70
	v_add_f16_e32 v76, v61, v63
	v_fmac_f16_e32 v26, 0x3b9c, v70
	v_add_f16_e32 v70, v25, v50
	;; [unrolled: 2-line block ×3, first 2 shown]
	v_fma_f16 v75, -0.5, v76, v25
	v_sub_f16_e32 v68, v68, v69
	v_fmac_f16_e32 v82, 0x34f2, v20
	v_add_f16_e32 v20, v70, v61
	v_fmac_f16_e32 v71, 0x38b4, v72
	v_fmac_f16_e32 v26, 0xb8b4, v72
	v_fmamk_f16 v69, v68, 0x3b9c, v75
	v_sub_f16_e32 v66, v66, v67
	v_sub_f16_e32 v67, v50, v61
	;; [unrolled: 1-line block ×3, first 2 shown]
	v_fmac_f16_e32 v75, 0xbb9c, v68
	v_add_f16_e32 v72, v50, v64
	v_add_f16_e32 v20, v20, v63
	v_fmac_f16_e32 v69, 0x38b4, v66
	v_add_f16_e32 v67, v67, v70
	v_fmac_f16_e32 v75, 0xb8b4, v66
	v_fmac_f16_e32 v25, -0.5, v72
	v_add_f16_e32 v70, v20, v64
	v_sub_f16_e32 v61, v61, v50
	v_sub_f16_e32 v63, v63, v64
	v_add_f16_e32 v64, v18, v57
	v_fmac_f16_e32 v69, 0x34f2, v67
	v_fmac_f16_e32 v75, 0x34f2, v67
	v_fmamk_f16 v67, v66, 0xbb9c, v25
	v_add_f16_e32 v20, v58, v59
	v_fmac_f16_e32 v25, 0x3b9c, v66
	v_add_f16_e32 v61, v61, v63
	v_add_f16_e32 v63, v64, v58
	;; [unrolled: 1-line block ×3, first 2 shown]
	v_fma_f16 v50, -0.5, v20, v18
	v_sub_f16_e32 v62, v62, v65
	v_fmac_f16_e32 v67, 0x38b4, v68
	v_fmac_f16_e32 v25, 0xb8b4, v68
	v_sub_f16_e32 v60, v55, v60
	v_fmac_f16_e32 v18, -0.5, v64
	v_fmamk_f16 v20, v62, 0x3b9c, v50
	v_fmac_f16_e32 v67, 0x34f2, v61
	v_fmac_f16_e32 v25, 0x34f2, v61
	v_add_f16_e32 v61, v63, v59
	v_sub_f16_e32 v63, v57, v58
	v_sub_f16_e32 v64, v56, v59
	v_fmac_f16_e32 v50, 0xbb9c, v62
	v_fmamk_f16 v55, v60, 0xbb9c, v18
	v_sub_f16_e32 v57, v58, v57
	v_sub_f16_e32 v58, v59, v56
	v_fmac_f16_e32 v18, 0x3b9c, v60
	v_fmac_f16_e32 v20, 0x38b4, v60
	v_add_f16_e32 v59, v63, v64
	v_fmac_f16_e32 v50, 0xb8b4, v60
	v_fmac_f16_e32 v55, 0x38b4, v62
	v_add_f16_e32 v57, v57, v58
	v_fmac_f16_e32 v18, 0xb8b4, v62
	v_fmac_f16_e32 v91, 0x34f2, v90
	;; [unrolled: 1-line block ×5, first 2 shown]
	v_add_f16_e32 v56, v61, v56
	v_add_f16_e32 v73, v73, v77
	v_fmac_f16_e32 v20, 0x34f2, v59
	v_fmac_f16_e32 v50, 0x34f2, v59
	;; [unrolled: 1-line block ×4, first 2 shown]
	s_waitcnt lgkmcnt(0)
	s_barrier
	buffer_gl0_inv
	ds_write_b16 v54, v88
	ds_write_b16 v54, v94 offset:18
	ds_write_b16 v54, v91 offset:36
	ds_write_b16 v54, v28 offset:54
	ds_write_b16 v54, v89 offset:72
	ds_write_b16 v53, v86
	ds_write_b16 v53, v81 offset:18
	ds_write_b16 v53, v87 offset:36
	ds_write_b16 v53, v27 offset:54
	ds_write_b16 v53, v93 offset:72
	;; [unrolled: 5-line block ×5, first 2 shown]
	s_waitcnt lgkmcnt(0)
	s_barrier
	buffer_gl0_inv
	ds_read_u16 v27, v0
	ds_read_u16 v26, v0 offset:126
	ds_read_u16 v62, v0 offset:576
	;; [unrolled: 1-line block ×20, first 2 shown]
                                        ; implicit-def: $vgpr28
	s_and_saveexec_b32 s1, s0
	s_cbranch_execz .LBB0_31
; %bb.30:
	ds_read_u16 v20, v0 offset:378
	ds_read_u16 v55, v0 offset:828
	;; [unrolled: 1-line block ×7, first 2 shown]
.LBB0_31:
	s_or_b32 exec_lo, exec_lo, s1
	v_subrev_nc_u32_e32 v49, 45, v9
	v_cmp_gt_u32_e64 s1, 45, v9
	v_mov_b32_e32 v52, 0
	v_mul_lo_u16 v12, 0x6d, v12
	v_mul_lo_u16 v14, 0x6d, v14
	;; [unrolled: 1-line block ×3, first 2 shown]
	v_cndmask_b32_e64 v49, v49, v9, s1
	v_lshrrev_b16 v12, 8, v12
	v_lshrrev_b16 v14, 8, v14
	v_lshrrev_b16 v13, 8, v13
	v_mul_i32_i24_e32 v51, 6, v49
	v_lshlrev_b32_e32 v49, 1, v49
	v_sub_nc_u16 v53, v7, v12
	v_sub_nc_u16 v74, v10, v13
	v_lshlrev_b64 v[51:52], 2, v[51:52]
	v_lshrrev_b16 v74, 1, v74
	v_add_co_u32 v51, s1, s12, v51
	v_add_co_ci_u32_e64 v52, s1, s13, v52, s1
	v_cmp_lt_u32_e64 s1, 44, v9
	s_clause 0x1
	global_load_dwordx4 v[82:85], v[51:52], off offset:168
	global_load_dwordx2 v[99:100], v[51:52], off offset:184
	v_lshrrev_b16 v51, 1, v53
	v_sub_nc_u16 v52, v8, v14
	v_and_b32_e32 v51, 0x7f, v51
	v_add_nc_u16 v12, v51, v12
	v_lshrrev_b16 v51, 1, v52
	v_lshrrev_b16 v12, 5, v12
	v_and_b32_e32 v51, 0x7f, v51
	v_mul_lo_u16 v52, v12, 45
	v_add_nc_u16 v14, v51, v14
	v_mov_b32_e32 v51, 6
	v_sub_nc_u16 v52, v7, v52
	v_lshrrev_b16 v14, 5, v14
	v_mul_u32_u24_sdwa v53, v52, v51 dst_sel:DWORD dst_unused:UNUSED_PAD src0_sel:BYTE_0 src1_sel:DWORD
	v_mul_lo_u16 v73, v14, 45
	v_lshlrev_b32_e32 v53, 2, v53
	v_sub_nc_u16 v73, v8, v73
	global_load_dwordx4 v[87:90], v53, s[12:13] offset:168
	v_mul_u32_u24_sdwa v51, v73, v51 dst_sel:DWORD dst_unused:UNUSED_PAD src0_sel:BYTE_0 src1_sel:DWORD
	v_lshlrev_b32_e32 v51, 2, v51
	s_clause 0x1
	global_load_dwordx2 v[101:102], v53, s[12:13] offset:184
	global_load_dwordx4 v[91:94], v51, s[12:13] offset:168
	v_and_b32_e32 v53, 0x7f, v74
	global_load_dwordx2 v[103:104], v51, s[12:13] offset:184
	v_cndmask_b32_e64 v74, 0, 0x276, s1
	v_add_nc_u16 v13, v53, v13
	v_mov_b32_e32 v53, 1
	v_lshrrev_b16 v13, 5, v13
	v_lshlrev_b32_sdwa v73, v53, v73 dst_sel:DWORD dst_unused:UNUSED_PAD src0_sel:DWORD src1_sel:BYTE_0
	v_mul_lo_u16 v13, v13, 45
	v_sub_nc_u16 v13, v10, v13
	v_and_b32_e32 v13, 0xff, v13
	v_mul_u32_u24_e32 v51, 6, v13
	v_lshlrev_b32_e32 v51, 2, v51
	s_clause 0x1
	global_load_dwordx4 v[95:98], v51, s[12:13] offset:168
	global_load_dwordx2 v[105:106], v51, s[12:13] offset:184
	v_mov_b32_e32 v51, 0x276
	s_waitcnt vmcnt(0) lgkmcnt(0)
	s_barrier
	buffer_gl0_inv
	v_mul_u32_u24_sdwa v12, v12, v51 dst_sel:DWORD dst_unused:UNUSED_PAD src0_sel:WORD_0 src1_sel:DWORD
	v_mul_u32_u24_sdwa v14, v14, v51 dst_sel:DWORD dst_unused:UNUSED_PAD src0_sel:WORD_0 src1_sel:DWORD
	v_lshlrev_b32_sdwa v51, v53, v52 dst_sel:DWORD dst_unused:UNUSED_PAD src0_sel:DWORD src1_sel:BYTE_0
	v_add3_u32 v53, 0, v74, v49
	v_lshl_add_u32 v49, v13, 1, 0
	v_add3_u32 v52, 0, v12, v51
	v_add3_u32 v51, 0, v14, v73
	v_mul_f16_sdwa v74, v70, v82 dst_sel:DWORD dst_unused:UNUSED_PAD src0_sel:DWORD src1_sel:WORD_1
	v_mul_f16_sdwa v12, v45, v82 dst_sel:DWORD dst_unused:UNUSED_PAD src0_sel:DWORD src1_sel:WORD_1
	;; [unrolled: 1-line block ×12, first 2 shown]
	v_fmac_f16_e32 v74, v45, v82
	v_fma_f16 v82, v70, v82, -v12
	v_fmac_f16_e32 v73, v43, v83
	v_fma_f16 v83, v68, v83, -v13
	;; [unrolled: 2-line block ×3, first 2 shown]
	v_fmac_f16_e32 v76, v46, v85
	v_fmac_f16_e32 v79, v48, v100
	;; [unrolled: 1-line block ×3, first 2 shown]
	v_fma_f16 v86, v72, v100, -v86
	v_fma_f16 v84, v69, v85, -v78
	;; [unrolled: 1-line block ×3, first 2 shown]
	v_add_f16_e32 v12, v74, v79
	v_add_f16_e32 v13, v73, v77
	v_sub_f16_e32 v14, v82, v86
	v_add_f16_e32 v43, v75, v76
	v_sub_f16_e32 v44, v83, v85
	v_sub_f16_e32 v45, v84, v81
	v_add_f16_e32 v46, v13, v12
	v_sub_f16_e32 v47, v13, v12
	v_sub_f16_e32 v12, v12, v43
	;; [unrolled: 1-line block ×3, first 2 shown]
	v_add_f16_e32 v48, v45, v44
	v_sub_f16_e32 v67, v45, v44
	v_sub_f16_e32 v44, v44, v14
	;; [unrolled: 1-line block ×3, first 2 shown]
	v_add_f16_e32 v43, v43, v46
	v_add_f16_e32 v46, v48, v14
	v_mul_f16_e32 v12, 0x3a52, v12
	v_mul_f16_e32 v48, 0x3846, v67
	;; [unrolled: 1-line block ×4, first 2 shown]
	v_add_f16_e32 v42, v42, v43
	v_fmamk_f16 v99, v13, 0x2b26, v12
	v_fmamk_f16 v107, v45, 0xb574, v48
	v_fma_f16 v108, v44, 0xbb00, -v48
	v_fma_f16 v109, v45, 0x3574, -v67
	v_mul_f16_sdwa v70, v62, v87 dst_sel:DWORD dst_unused:UNUSED_PAD src0_sel:DWORD src1_sel:WORD_1
	v_mul_f16_sdwa v69, v60, v88 dst_sel:DWORD dst_unused:UNUSED_PAD src0_sel:DWORD src1_sel:WORD_1
	;; [unrolled: 1-line block ×7, first 2 shown]
	v_fma_f16 v100, v47, 0x39e0, -v14
	v_fma_f16 v47, v47, 0xb9e0, -v12
	v_mul_f16_sdwa v44, v38, v87 dst_sel:DWORD dst_unused:UNUSED_PAD src0_sel:DWORD src1_sel:WORD_1
	v_mul_f16_sdwa v45, v33, v88 dst_sel:DWORD dst_unused:UNUSED_PAD src0_sel:DWORD src1_sel:WORD_1
	;; [unrolled: 1-line block ×16, first 2 shown]
	v_fmac_f16_e32 v107, 0xb70e, v46
	v_fmac_f16_e32 v108, 0xb70e, v46
	;; [unrolled: 1-line block ×3, first 2 shown]
	v_fmamk_f16 v43, v43, 0xbcab, v42
	v_fmac_f16_e32 v70, v38, v87
	v_fmac_f16_e32 v69, v33, v88
	;; [unrolled: 1-line block ×6, first 2 shown]
	v_fma_f16 v31, v56, v91, -v114
	v_mul_f16_sdwa v119, v35, v104 dst_sel:DWORD dst_unused:UNUSED_PAD src0_sel:DWORD src1_sel:WORD_1
	ds_write_b16 v53, v42
	v_fma_f16 v62, v62, v87, -v44
	v_fma_f16 v60, v60, v88, -v45
	;; [unrolled: 1-line block ×3, first 2 shown]
	v_fmac_f16_e32 v72, v39, v90
	v_fma_f16 v58, v58, v90, -v111
	v_mul_f16_sdwa v46, v21, v97 dst_sel:DWORD dst_unused:UNUSED_PAD src0_sel:DWORD src1_sel:WORD_1
	v_mul_f16_sdwa v40, v16, v98 dst_sel:DWORD dst_unused:UNUSED_PAD src0_sel:DWORD src1_sel:WORD_1
	;; [unrolled: 1-line block ×3, first 2 shown]
	v_fma_f16 v54, v54, v101, -v112
	v_fma_f16 v66, v66, v102, -v113
	v_fmac_f16_e32 v12, v36, v92
	v_fma_f16 v33, v65, v92, -v115
	v_fmac_f16_e32 v14, v34, v93
	;; [unrolled: 2-line block ×5, first 2 shown]
	v_mul_f16_sdwa v38, v55, v95 dst_sel:DWORD dst_unused:UNUSED_PAD src0_sel:DWORD src1_sel:WORD_1
	v_mul_f16_sdwa v37, v18, v96 dst_sel:DWORD dst_unused:UNUSED_PAD src0_sel:DWORD src1_sel:WORD_1
	;; [unrolled: 1-line block ×7, first 2 shown]
	v_add_f16_e32 v63, v99, v43
	v_add_f16_e32 v64, v100, v43
	;; [unrolled: 1-line block ×3, first 2 shown]
	v_fma_f16 v43, v50, v97, -v46
	v_fmac_f16_e32 v40, v11, v98
	v_fma_f16 v46, v16, v98, -v56
	v_add_f16_e32 v11, v70, v80
	v_add_f16_e32 v16, v69, v78
	v_fma_f16 v35, v61, v104, -v119
	v_mul_f16_sdwa v36, v23, v95 dst_sel:DWORD dst_unused:UNUSED_PAD src0_sel:DWORD src1_sel:WORD_1
	v_mul_f16_sdwa v61, v29, v106 dst_sel:DWORD dst_unused:UNUSED_PAD src0_sel:DWORD src1_sel:WORD_1
	v_fmac_f16_e32 v38, v23, v95
	v_fmac_f16_e32 v37, v17, v96
	v_fma_f16 v45, v18, v96, -v45
	v_fmac_f16_e32 v39, v21, v97
	v_fmac_f16_e32 v41, v6, v105
	v_fma_f16 v6, v15, v105, -v57
	v_fmac_f16_e32 v42, v29, v106
	v_sub_f16_e32 v15, v62, v66
	v_sub_f16_e32 v17, v60, v54
	v_add_f16_e32 v18, v71, v72
	v_sub_f16_e32 v21, v58, v59
	v_add_f16_e32 v23, v13, v68
	v_add_f16_e32 v29, v12, v67
	v_add_f16_e32 v87, v16, v11
	v_fma_f16 v44, v55, v95, -v36
	v_fma_f16 v47, v28, v106, -v61
	v_sub_f16_e32 v28, v31, v35
	v_sub_f16_e32 v36, v33, v34
	v_add_f16_e32 v50, v14, v48
	v_sub_f16_e32 v55, v32, v30
	v_add_f16_e32 v56, v107, v63
	v_sub_f16_e32 v88, v16, v11
	v_sub_f16_e32 v11, v11, v18
	;; [unrolled: 1-line block ×3, first 2 shown]
	v_add_f16_e32 v89, v21, v17
	v_sub_f16_e32 v90, v21, v17
	v_sub_f16_e32 v17, v17, v15
	v_add_f16_e32 v91, v29, v23
	v_add_f16_e32 v18, v18, v87
	;; [unrolled: 1-line block ×3, first 2 shown]
	v_sub_f16_e32 v61, v64, v108
	v_add_f16_e32 v64, v108, v64
	v_sub_f16_e32 v65, v65, v109
	v_sub_f16_e32 v63, v63, v107
	;; [unrolled: 1-line block ×6, first 2 shown]
	v_add_f16_e32 v93, v55, v36
	v_sub_f16_e32 v94, v55, v36
	v_sub_f16_e32 v36, v36, v28
	ds_write_b16 v53, v56 offset:90
	ds_write_b16 v53, v57 offset:180
	;; [unrolled: 1-line block ×6, first 2 shown]
	v_mul_f16_e32 v11, 0x3a52, v11
	v_mul_f16_e32 v57, 0x3846, v90
	;; [unrolled: 1-line block ×3, first 2 shown]
	v_add_f16_e32 v50, v50, v91
	v_add_f16_e32 v22, v22, v18
	v_mul_f16_e32 v56, 0x2b26, v16
	v_sub_f16_e32 v55, v28, v55
	v_add_f16_e32 v15, v89, v15
	v_mul_f16_e32 v23, 0x3a52, v23
	v_mul_f16_e32 v63, 0x2b26, v29
	;; [unrolled: 1-line block ×4, first 2 shown]
	v_fmamk_f16 v16, v16, 0x2b26, v11
	v_fmamk_f16 v87, v21, 0xb574, v57
	v_fma_f16 v17, v17, 0xbb00, -v57
	v_fma_f16 v21, v21, 0x3574, -v61
	v_add_f16_e32 v24, v24, v50
	v_fmamk_f16 v18, v18, 0xbcab, v22
	v_fma_f16 v11, v88, 0xb9e0, -v11
	v_fma_f16 v56, v88, 0x39e0, -v56
	v_add_f16_e32 v28, v93, v28
	v_fmamk_f16 v29, v29, 0x2b26, v23
	v_fma_f16 v57, v92, 0x39e0, -v63
	v_fma_f16 v23, v92, 0xb9e0, -v23
	v_fmamk_f16 v61, v55, 0xb574, v64
	v_fma_f16 v36, v36, 0xbb00, -v64
	v_fma_f16 v55, v55, 0x3574, -v65
	v_fmac_f16_e32 v87, 0xb70e, v15
	v_fmac_f16_e32 v17, 0xb70e, v15
	;; [unrolled: 1-line block ×3, first 2 shown]
	v_fmamk_f16 v15, v50, 0xbcab, v24
	v_add_f16_e32 v16, v16, v18
	v_add_f16_e32 v11, v11, v18
	ds_write_b16 v52, v22
	v_add_f16_e32 v22, v56, v18
	v_fmac_f16_e32 v61, 0xb70e, v28
	v_fmac_f16_e32 v36, 0xb70e, v28
	;; [unrolled: 1-line block ×3, first 2 shown]
	v_add_f16_e32 v18, v29, v15
	v_add_f16_e32 v28, v57, v15
	;; [unrolled: 1-line block ×5, first 2 shown]
	v_sub_f16_e32 v50, v22, v17
	v_add_f16_e32 v17, v17, v22
	v_sub_f16_e32 v11, v11, v21
	v_sub_f16_e32 v16, v16, v87
	v_add_f16_e32 v21, v61, v18
	v_add_f16_e32 v22, v55, v15
	v_sub_f16_e32 v56, v28, v36
	v_add_f16_e32 v28, v36, v28
	v_sub_f16_e32 v15, v15, v55
	v_sub_f16_e32 v18, v18, v61
	ds_write_b16 v52, v23 offset:90
	ds_write_b16 v52, v29 offset:180
	;; [unrolled: 1-line block ×6, first 2 shown]
	ds_write_b16 v51, v24
	ds_write_b16 v51, v21 offset:90
	ds_write_b16 v51, v22 offset:180
	;; [unrolled: 1-line block ×6, first 2 shown]
	s_and_saveexec_b32 s1, s0
	s_cbranch_execz .LBB0_33
; %bb.32:
	v_add_f16_e32 v11, v38, v42
	v_add_f16_e32 v15, v37, v41
	;; [unrolled: 1-line block ×3, first 2 shown]
	v_sub_f16_e32 v18, v46, v43
	v_sub_f16_e32 v22, v45, v6
	;; [unrolled: 1-line block ×3, first 2 shown]
	v_add_f16_e32 v21, v15, v11
	v_sub_f16_e32 v23, v11, v16
	v_sub_f16_e32 v24, v16, v15
	v_sub_f16_e32 v11, v15, v11
	v_sub_f16_e32 v28, v17, v18
	v_add_f16_e32 v16, v16, v21
	v_sub_f16_e32 v21, v18, v22
	v_add_f16_e32 v18, v18, v22
	v_sub_f16_e32 v22, v22, v17
	v_mul_f16_e32 v15, 0x3a52, v23
	v_add_f16_e32 v19, v19, v16
	v_mul_f16_e32 v21, 0x3846, v21
	v_add_f16_e32 v17, v18, v17
	v_mul_f16_e32 v23, 0xbb00, v22
	v_fmamk_f16 v18, v24, 0x2b26, v15
	v_mul_f16_e32 v24, 0x2b26, v24
	v_fmamk_f16 v16, v16, 0xbcab, v19
	v_fmamk_f16 v29, v28, 0xb574, v21
	v_fma_f16 v15, v11, 0xb9e0, -v15
	v_fma_f16 v23, v28, 0x3574, -v23
	;; [unrolled: 1-line block ×4, first 2 shown]
	v_add_f16_e32 v18, v18, v16
	v_fmac_f16_e32 v29, 0xb70e, v17
	v_add_f16_e32 v15, v15, v16
	v_fmac_f16_e32 v23, 0xb70e, v17
	v_fmac_f16_e32 v21, 0xb70e, v17
	v_add_f16_e32 v11, v11, v16
	v_sub_f16_e32 v16, v18, v29
	v_add_f16_e32 v18, v29, v18
	v_sub_f16_e32 v17, v15, v23
	;; [unrolled: 2-line block ×3, first 2 shown]
	v_add_f16_e32 v11, v21, v11
	ds_write_b16 v49, v19 offset:2520
	ds_write_b16 v49, v18 offset:2610
	;; [unrolled: 1-line block ×7, first 2 shown]
.LBB0_33:
	s_or_b32 exec_lo, exec_lo, s1
	v_add_f16_e32 v11, v82, v86
	v_add_f16_e32 v15, v83, v85
	v_sub_f16_e32 v16, v74, v79
	v_add_f16_e32 v17, v81, v84
	v_sub_f16_e32 v18, v73, v77
	v_sub_f16_e32 v19, v76, v75
	v_add_f16_e32 v21, v15, v11
	v_sub_f16_e32 v22, v15, v11
	v_sub_f16_e32 v11, v11, v17
	;; [unrolled: 1-line block ×3, first 2 shown]
	v_add_f16_e32 v23, v19, v18
	v_add_f16_e32 v17, v17, v21
	v_sub_f16_e32 v21, v19, v18
	v_sub_f16_e32 v18, v18, v16
	;; [unrolled: 1-line block ×3, first 2 shown]
	v_add_f16_e32 v16, v23, v16
	v_add_f16_e32 v50, v27, v17
	v_mul_f16_e32 v11, 0x3a52, v11
	v_mul_f16_e32 v23, 0x2b26, v15
	v_mul_f16_e32 v21, 0x3846, v21
	v_mul_f16_e32 v24, 0xbb00, v18
	v_fmamk_f16 v17, v17, 0xbcab, v50
	v_fmamk_f16 v15, v15, 0x2b26, v11
	v_fma_f16 v23, v22, 0x39e0, -v23
	v_fma_f16 v11, v22, 0xb9e0, -v11
	v_fmamk_f16 v22, v19, 0xb574, v21
	v_fma_f16 v18, v18, 0xbb00, -v21
	v_fma_f16 v19, v19, 0x3574, -v24
	v_add_f16_e32 v15, v15, v17
	v_add_f16_e32 v21, v23, v17
	;; [unrolled: 1-line block ×3, first 2 shown]
	v_fmac_f16_e32 v22, 0xb70e, v16
	v_fmac_f16_e32 v19, 0xb70e, v16
	;; [unrolled: 1-line block ×3, first 2 shown]
	v_add_f16_e32 v16, v62, v66
	v_add_f16_e32 v17, v60, v54
	v_sub_f16_e32 v23, v69, v78
	v_sub_f16_e32 v24, v72, v71
	v_add_f16_e32 v57, v18, v21
	v_sub_f16_e32 v61, v21, v18
	v_sub_f16_e32 v18, v70, v80
	v_add_f16_e32 v21, v59, v58
	v_add_f16_e32 v27, v17, v16
	v_sub_f16_e32 v28, v17, v16
	v_add_f16_e32 v29, v24, v23
	v_sub_f16_e32 v55, v15, v22
	v_sub_f16_e32 v16, v16, v21
	;; [unrolled: 1-line block ×3, first 2 shown]
	v_add_f16_e32 v21, v21, v27
	v_sub_f16_e32 v27, v24, v23
	v_sub_f16_e32 v23, v23, v18
	v_sub_f16_e32 v24, v18, v24
	v_add_f16_e32 v18, v29, v18
	v_add_f16_e32 v54, v26, v21
	v_mul_f16_e32 v16, 0x3a52, v16
	v_mul_f16_e32 v26, 0x2b26, v17
	;; [unrolled: 1-line block ×4, first 2 shown]
	v_sub_f16_e32 v56, v11, v19
	v_fmamk_f16 v17, v17, 0x2b26, v16
	v_fma_f16 v26, v28, 0x39e0, -v26
	v_fma_f16 v16, v28, 0xb9e0, -v16
	v_fmamk_f16 v28, v24, 0xb574, v27
	v_fma_f16 v23, v23, 0xbb00, -v27
	v_fma_f16 v24, v24, 0x3574, -v29
	v_add_f16_e32 v58, v19, v11
	v_add_f16_e32 v59, v22, v15
	;; [unrolled: 1-line block ×4, first 2 shown]
	v_fmamk_f16 v21, v21, 0xbcab, v54
	v_fmac_f16_e32 v28, 0xb70e, v18
	v_fmac_f16_e32 v24, 0xb70e, v18
	;; [unrolled: 1-line block ×3, first 2 shown]
	v_sub_f16_e32 v13, v13, v68
	v_add_f16_e32 v18, v30, v32
	v_sub_f16_e32 v12, v12, v67
	v_sub_f16_e32 v14, v48, v14
	v_add_f16_e32 v19, v15, v11
	v_add_f16_e32 v17, v17, v21
	;; [unrolled: 1-line block ×4, first 2 shown]
	v_sub_f16_e32 v21, v15, v11
	v_sub_f16_e32 v11, v11, v18
	v_sub_f16_e32 v15, v18, v15
	v_add_f16_e32 v22, v14, v12
	v_add_f16_e32 v18, v18, v19
	v_sub_f16_e32 v19, v14, v12
	v_sub_f16_e32 v12, v12, v13
	v_add_f16_e32 v63, v23, v26
	v_sub_f16_e32 v64, v26, v23
	v_sub_f16_e32 v14, v13, v14
	v_add_f16_e32 v13, v22, v13
	v_add_f16_e32 v48, v25, v18
	v_mul_f16_e32 v11, 0x3a52, v11
	v_mul_f16_e32 v22, 0x2b26, v15
	;; [unrolled: 1-line block ×4, first 2 shown]
	v_fmamk_f16 v18, v18, 0xbcab, v48
	v_fmamk_f16 v15, v15, 0x2b26, v11
	v_fma_f16 v22, v21, 0x39e0, -v22
	v_fma_f16 v11, v21, 0xb9e0, -v11
	v_fmamk_f16 v21, v14, 0xb574, v19
	v_fma_f16 v12, v12, 0xbb00, -v19
	v_fma_f16 v14, v14, 0x3574, -v23
	v_add_f16_e32 v15, v15, v18
	v_add_f16_e32 v19, v22, v18
	;; [unrolled: 1-line block ×3, first 2 shown]
	v_fmac_f16_e32 v21, 0xb70e, v13
	v_fmac_f16_e32 v14, 0xb70e, v13
	;; [unrolled: 1-line block ×3, first 2 shown]
	v_sub_f16_e32 v60, v17, v28
	v_sub_f16_e32 v62, v16, v24
	v_add_f16_e32 v65, v24, v16
	v_add_f16_e32 v66, v28, v17
	v_sub_f16_e32 v67, v15, v21
	v_sub_f16_e32 v68, v11, v14
	v_add_f16_e32 v69, v12, v19
	v_sub_f16_e32 v70, v19, v12
	v_add_f16_e32 v71, v14, v11
	v_add_f16_e32 v72, v21, v15
	s_waitcnt lgkmcnt(0)
	s_barrier
	buffer_gl0_inv
	ds_read_u16 v18, v0 offset:756
	ds_read_u16 v24, v0 offset:882
	ds_read_u16 v11, v0
	ds_read_u16 v12, v0 offset:126
	ds_read_u16 v17, v0 offset:252
	;; [unrolled: 1-line block ×22, first 2 shown]
	s_waitcnt lgkmcnt(0)
	s_barrier
	buffer_gl0_inv
	ds_write_b16 v53, v50
	ds_write_b16 v53, v55 offset:90
	ds_write_b16 v53, v56 offset:180
	ds_write_b16 v53, v57 offset:270
	ds_write_b16 v53, v61 offset:360
	ds_write_b16 v53, v58 offset:450
	ds_write_b16 v53, v59 offset:540
	ds_write_b16 v52, v54
	ds_write_b16 v52, v60 offset:90
	ds_write_b16 v52, v62 offset:180
	ds_write_b16 v52, v63 offset:270
	ds_write_b16 v52, v64 offset:360
	ds_write_b16 v52, v65 offset:450
	ds_write_b16 v52, v66 offset:540
	;; [unrolled: 7-line block ×3, first 2 shown]
	s_and_saveexec_b32 s1, s0
	s_cbranch_execz .LBB0_35
; %bb.34:
	v_add_f16_e32 v44, v44, v47
	v_add_f16_e32 v6, v45, v6
	v_sub_f16_e32 v38, v38, v42
	v_add_f16_e32 v42, v43, v46
	v_sub_f16_e32 v37, v37, v41
	v_sub_f16_e32 v39, v40, v39
	v_add_f16_e32 v40, v6, v44
	v_sub_f16_e32 v41, v6, v44
	v_sub_f16_e32 v43, v44, v42
	;; [unrolled: 1-line block ×3, first 2 shown]
	v_add_f16_e32 v44, v39, v37
	v_add_f16_e32 v40, v42, v40
	v_sub_f16_e32 v42, v39, v37
	v_sub_f16_e32 v37, v37, v38
	;; [unrolled: 1-line block ×3, first 2 shown]
	v_add_f16_e32 v38, v44, v38
	v_add_f16_e32 v20, v20, v40
	v_mul_f16_e32 v43, 0x3a52, v43
	v_mul_f16_e32 v44, 0x2b26, v6
	;; [unrolled: 1-line block ×4, first 2 shown]
	v_fmamk_f16 v40, v40, 0xbcab, v20
	v_fmamk_f16 v6, v6, 0x2b26, v43
	v_fma_f16 v44, v41, 0x39e0, -v44
	v_fma_f16 v41, v41, 0xb9e0, -v43
	v_fmamk_f16 v43, v39, 0xb574, v42
	v_fma_f16 v39, v39, 0x3574, -v45
	v_fma_f16 v37, v37, 0xbb00, -v42
	v_add_f16_e32 v6, v6, v40
	v_add_f16_e32 v42, v44, v40
	v_fmac_f16_e32 v43, 0xb70e, v38
	v_add_f16_e32 v40, v41, v40
	v_fmac_f16_e32 v39, 0xb70e, v38
	v_fmac_f16_e32 v37, 0xb70e, v38
	v_sub_f16_e32 v38, v6, v43
	v_add_f16_e32 v6, v43, v6
	v_sub_f16_e32 v41, v40, v39
	v_add_f16_e32 v44, v37, v42
	;; [unrolled: 2-line block ×3, first 2 shown]
	ds_write_b16 v49, v20 offset:2520
	ds_write_b16 v49, v38 offset:2610
	;; [unrolled: 1-line block ×7, first 2 shown]
.LBB0_35:
	s_or_b32 exec_lo, exec_lo, s1
	s_waitcnt lgkmcnt(0)
	s_barrier
	buffer_gl0_inv
	s_and_saveexec_b32 s0, vcc_lo
	s_cbranch_execz .LBB0_37
; %bb.36:
	v_lshlrev_b32_e32 v5, 2, v5
	v_mov_b32_e32 v6, 0
	v_lshlrev_b64 v[1:2], 2, v[1:2]
	v_lshlrev_b64 v[37:38], 2, v[5:6]
	v_lshlrev_b32_e32 v5, 2, v10
	v_lshlrev_b64 v[41:42], 2, v[5:6]
	v_lshlrev_b32_e32 v5, 2, v8
	v_add_co_u32 v37, vcc_lo, s12, v37
	v_add_co_ci_u32_e32 v38, vcc_lo, s13, v38, vcc_lo
	v_lshlrev_b64 v[45:46], 2, v[5:6]
	v_lshlrev_b32_e32 v5, 2, v7
	v_add_co_u32 v41, vcc_lo, s12, v41
	global_load_dwordx4 v[37:40], v[37:38], off offset:1248
	v_add_co_ci_u32_e32 v42, vcc_lo, s13, v42, vcc_lo
	v_lshlrev_b64 v[7:8], 2, v[5:6]
	v_add_co_u32 v45, vcc_lo, s12, v45
	global_load_dwordx4 v[41:44], v[41:42], off offset:1248
	v_add_co_ci_u32_e32 v46, vcc_lo, s13, v46, vcc_lo
	v_add_co_u32 v7, vcc_lo, s12, v7
	v_add_co_ci_u32_e32 v8, vcc_lo, s13, v8, vcc_lo
	global_load_dwordx4 v[45:48], v[45:46], off offset:1248
	v_lshlrev_b32_e32 v5, 2, v9
	global_load_dwordx4 v[49:52], v[7:8], off offset:1248
	v_lshlrev_b64 v[7:8], 2, v[5:6]
	v_mul_lo_u32 v5, s3, v3
	v_add_co_u32 v7, vcc_lo, s12, v7
	v_add_co_ci_u32_e32 v8, vcc_lo, s13, v8, vcc_lo
	global_load_dwordx4 v[53:56], v[7:8], off offset:1248
	v_mul_lo_u32 v7, s2, v4
	v_mad_u64_u32 v[3:4], null, s2, v3, 0
	ds_read_u16 v8, v0 offset:2394
	ds_read_u16 v10, v0 offset:3024
	;; [unrolled: 1-line block ×24, first 2 shown]
	ds_read_u16 v78, v0
	v_add3_u32 v4, v4, v7, v5
	v_lshlrev_b64 v[3:4], 2, v[3:4]
	v_add_co_u32 v3, vcc_lo, s10, v3
	v_add_co_ci_u32_e32 v4, vcc_lo, s11, v4, vcc_lo
	s_waitcnt vmcnt(4)
	v_mul_f16_sdwa v0, v34, v38 dst_sel:DWORD dst_unused:UNUSED_PAD src0_sel:DWORD src1_sel:WORD_1
	v_mul_f16_sdwa v5, v33, v37 dst_sel:DWORD dst_unused:UNUSED_PAD src0_sel:DWORD src1_sel:WORD_1
	;; [unrolled: 1-line block ×4, first 2 shown]
	s_waitcnt lgkmcnt(21)
	v_mul_f16_sdwa v80, v20, v38 dst_sel:DWORD dst_unused:UNUSED_PAD src0_sel:DWORD src1_sel:WORD_1
	v_mul_f16_sdwa v81, v8, v39 dst_sel:DWORD dst_unused:UNUSED_PAD src0_sel:DWORD src1_sel:WORD_1
	s_waitcnt lgkmcnt(16)
	v_mul_f16_sdwa v82, v62, v37 dst_sel:DWORD dst_unused:UNUSED_PAD src0_sel:DWORD src1_sel:WORD_1
	v_mul_f16_sdwa v83, v10, v40 dst_sel:DWORD dst_unused:UNUSED_PAD src0_sel:DWORD src1_sel:WORD_1
	v_fma_f16 v20, v38, v20, -v0
	v_fma_f16 v0, v37, v62, -v5
	;; [unrolled: 1-line block ×4, first 2 shown]
	v_fmac_f16_e32 v80, v34, v38
	v_fmac_f16_e32 v81, v36, v39
	;; [unrolled: 1-line block ×4, first 2 shown]
	s_waitcnt vmcnt(3)
	v_mul_f16_sdwa v7, v30, v42 dst_sel:DWORD dst_unused:UNUSED_PAD src0_sel:DWORD src1_sel:WORD_1
	v_mul_f16_sdwa v8, v29, v41 dst_sel:DWORD dst_unused:UNUSED_PAD src0_sel:DWORD src1_sel:WORD_1
	;; [unrolled: 1-line block ×5, first 2 shown]
	s_waitcnt lgkmcnt(10)
	v_mul_f16_sdwa v35, v68, v43 dst_sel:DWORD dst_unused:UNUSED_PAD src0_sel:DWORD src1_sel:WORD_1
	v_mul_f16_sdwa v36, v63, v41 dst_sel:DWORD dst_unused:UNUSED_PAD src0_sel:DWORD src1_sel:WORD_1
	;; [unrolled: 1-line block ×3, first 2 shown]
	v_sub_f16_e32 v38, v20, v0
	v_sub_f16_e32 v39, v5, v62
	v_add_f16_e32 v79, v0, v62
	v_sub_f16_e32 v84, v82, v83
	v_sub_f16_e32 v85, v80, v82
	;; [unrolled: 1-line block ×3, first 2 shown]
	v_add_f16_e32 v88, v82, v83
	v_sub_f16_e32 v90, v0, v20
	v_sub_f16_e32 v91, v62, v5
	v_add_f16_e32 v92, v20, v5
	v_sub_f16_e32 v93, v82, v80
	v_sub_f16_e32 v94, v83, v81
	v_add_f16_e32 v95, v80, v81
	s_waitcnt lgkmcnt(4)
	v_add_f16_e32 v96, v0, v74
	v_add_f16_e32 v82, v28, v82
	v_fma_f16 v58, v42, v58, -v7
	v_fma_f16 v63, v41, v63, -v8
	;; [unrolled: 1-line block ×4, first 2 shown]
	v_fmac_f16_e32 v34, v30, v42
	v_fmac_f16_e32 v35, v31, v43
	;; [unrolled: 1-line block ×4, first 2 shown]
	s_waitcnt vmcnt(2)
	v_mul_f16_sdwa v29, v24, v45 dst_sel:DWORD dst_unused:UNUSED_PAD src0_sel:DWORD src1_sel:WORD_1
	v_mul_f16_sdwa v30, v25, v46 dst_sel:DWORD dst_unused:UNUSED_PAD src0_sel:DWORD src1_sel:WORD_1
	;; [unrolled: 1-line block ×5, first 2 shown]
	v_sub_f16_e32 v40, v80, v81
	v_sub_f16_e32 v87, v0, v62
	v_mul_f16_sdwa v41, v71, v45 dst_sel:DWORD dst_unused:UNUSED_PAD src0_sel:DWORD src1_sel:WORD_1
	v_mul_f16_sdwa v42, v65, v48 dst_sel:DWORD dst_unused:UNUSED_PAD src0_sel:DWORD src1_sel:WORD_1
	;; [unrolled: 1-line block ×3, first 2 shown]
	v_add_f16_e32 v38, v38, v39
	v_fma_f16 v8, -0.5, v79, v74
	v_add_f16_e32 v39, v85, v86
	v_fma_f16 v10, -0.5, v88, v28
	;; [unrolled: 2-line block ×4, first 2 shown]
	v_add_f16_e32 v28, v20, v96
	v_add_f16_e32 v79, v80, v82
	v_sub_f16_e32 v80, v58, v63
	v_add_f16_e32 v86, v63, v33
	v_sub_f16_e32 v88, v36, v37
	v_sub_f16_e32 v90, v34, v36
	;; [unrolled: 1-line block ×3, first 2 shown]
	v_add_f16_e32 v93, v36, v37
	v_sub_f16_e32 v95, v63, v58
	v_sub_f16_e32 v98, v36, v34
	s_waitcnt lgkmcnt(3)
	v_add_f16_e32 v63, v63, v75
	v_add_f16_e32 v36, v23, v36
	v_fma_f16 v71, v45, v71, -v29
	v_fma_f16 v59, v46, v59, -v30
	;; [unrolled: 1-line block ×4, first 2 shown]
	v_fmac_f16_e32 v43, v25, v46
	s_waitcnt vmcnt(1)
	v_mul_f16_sdwa v31, v19, v50 dst_sel:DWORD dst_unused:UNUSED_PAD src0_sel:DWORD src1_sel:WORD_1
	v_mul_f16_sdwa v46, v21, v51 dst_sel:DWORD dst_unused:UNUSED_PAD src0_sel:DWORD src1_sel:WORD_1
	v_sub_f16_e32 v89, v20, v5
	v_sub_f16_e32 v85, v34, v35
	;; [unrolled: 1-line block ×4, first 2 shown]
	v_add_f16_e32 v97, v58, v68
	v_sub_f16_e32 v99, v37, v35
	v_add_f16_e32 v100, v34, v35
	v_fmac_f16_e32 v41, v24, v45
	v_fmac_f16_e32 v42, v27, v48
	;; [unrolled: 1-line block ×3, first 2 shown]
	v_mul_f16_sdwa v30, v18, v49 dst_sel:DWORD dst_unused:UNUSED_PAD src0_sel:DWORD src1_sel:WORD_1
	v_mul_f16_sdwa v45, v22, v52 dst_sel:DWORD dst_unused:UNUSED_PAD src0_sel:DWORD src1_sel:WORD_1
	;; [unrolled: 1-line block ×5, first 2 shown]
	v_fmamk_f16 v20, v40, 0x3b9c, v8
	v_fmac_f16_e32 v8, 0xbb9c, v40
	v_add_f16_e32 v5, v5, v28
	v_fma_f16 v28, -0.5, v86, v75
	v_add_f16_e32 v58, v58, v63
	v_add_f16_e32 v34, v34, v36
	v_sub_f16_e32 v36, v71, v59
	v_sub_f16_e32 v63, v65, v32
	v_add_f16_e32 v86, v59, v32
	v_add_f16_e32 v102, v71, v65
	v_fma_f16 v60, v50, v60, -v31
	v_fma_f16 v46, v51, v70, -v46
	v_sub_f16_e32 v82, v68, v33
	v_sub_f16_e32 v96, v33, v68
	v_mul_f16_sdwa v101, v70, v51 dst_sel:DWORD dst_unused:UNUSED_PAD src0_sel:DWORD src1_sel:WORD_1
	v_add_f16_e32 v79, v79, v81
	v_add_f16_e32 v81, v90, v91
	v_fma_f16 v29, -0.5, v93, v23
	v_fma_f16 v27, -0.5, v97, v75
	v_add_f16_e32 v75, v98, v99
	v_sub_f16_e32 v90, v41, v42
	v_sub_f16_e32 v93, v41, v43
	;; [unrolled: 1-line block ×4, first 2 shown]
	s_waitcnt lgkmcnt(2)
	v_add_f16_e32 v71, v71, v76
	v_sub_f16_e32 v103, v43, v41
	v_add_f16_e32 v105, v41, v42
	v_add_f16_e32 v41, v17, v41
	v_fma_f16 v72, v49, v72, -v30
	v_fma_f16 v45, v52, v66, -v45
	v_fmac_f16_e32 v47, v18, v49
	v_fmac_f16_e32 v48, v22, v52
	;; [unrolled: 1-line block ×4, first 2 shown]
	v_add_f16_e32 v34, v34, v35
	v_add_f16_e32 v35, v36, v63
	v_fma_f16 v36, -0.5, v86, v76
	v_fma_f16 v63, -0.5, v102, v76
	v_add_f16_e32 v76, v60, v46
	v_add_f16_e32 v80, v80, v82
	;; [unrolled: 1-line block ×4, first 2 shown]
	v_fmac_f16_e32 v69, v19, v50
	s_waitcnt vmcnt(0)
	v_mul_f16_sdwa v50, v15, v54 dst_sel:DWORD dst_unused:UNUSED_PAD src0_sel:DWORD src1_sel:WORD_1
	v_mul_f16_sdwa v52, v13, v55 dst_sel:DWORD dst_unused:UNUSED_PAD src0_sel:DWORD src1_sel:WORD_1
	v_fma_f16 v23, -0.5, v100, v23
	v_sub_f16_e32 v91, v43, v44
	v_sub_f16_e32 v98, v59, v32
	;; [unrolled: 1-line block ×3, first 2 shown]
	v_fmac_f16_e32 v101, v21, v51
	v_mul_f16_sdwa v49, v14, v53 dst_sel:DWORD dst_unused:UNUSED_PAD src0_sel:DWORD src1_sel:WORD_1
	v_mul_f16_sdwa v51, v16, v56 dst_sel:DWORD dst_unused:UNUSED_PAD src0_sel:DWORD src1_sel:WORD_1
	;; [unrolled: 1-line block ×3, first 2 shown]
	v_add_f16_e32 v19, v79, v83
	v_add_f16_e32 v59, v59, v71
	;; [unrolled: 1-line block ×3, first 2 shown]
	v_sub_f16_e32 v43, v72, v60
	v_sub_f16_e32 v71, v45, v46
	;; [unrolled: 1-line block ×3, first 2 shown]
	v_fmac_f16_e32 v20, 0x34f2, v38
	v_fmac_f16_e32 v8, 0x34f2, v38
	s_waitcnt lgkmcnt(1)
	v_fma_f16 v38, -0.5, v76, v77
	v_mul_f16_sdwa v70, v67, v56 dst_sel:DWORD dst_unused:UNUSED_PAD src0_sel:DWORD src1_sel:WORD_1
	v_mul_f16_sdwa v107, v57, v55 dst_sel:DWORD dst_unused:UNUSED_PAD src0_sel:DWORD src1_sel:WORD_1
	v_add_f16_e32 v18, v62, v5
	v_add_f16_e32 v5, v68, v58
	v_fma_f16 v58, -0.5, v96, v17
	v_fma_f16 v50, v54, v61, -v50
	v_fma_f16 v52, v55, v57, -v52
	v_fmamk_f16 v24, v89, 0xbb9c, v10
	v_fmac_f16_e32 v10, 0x3b9c, v89
	v_fmamk_f16 v25, v84, 0x3b9c, v0
	v_fmamk_f16 v26, v87, 0xbb9c, v7
	v_fmac_f16_e32 v0, 0xbb9c, v84
	v_fmac_f16_e32 v7, 0x3b9c, v87
	v_sub_f16_e32 v95, v42, v44
	v_sub_f16_e32 v104, v44, v42
	v_mul_f16_sdwa v106, v61, v54 dst_sel:DWORD dst_unused:UNUSED_PAD src0_sel:DWORD src1_sel:WORD_1
	v_add_f16_e32 v62, v99, v100
	v_sub_f16_e32 v83, v69, v101
	v_add_f16_e32 v99, v72, v45
	v_fma_f16 v49, v53, v73, -v49
	v_fma_f16 v51, v56, v67, -v51
	v_fmac_f16_e32 v66, v14, v53
	v_add_f16_e32 v14, v43, v71
	v_fmamk_f16 v71, v79, 0xbb9c, v38
	v_fmac_f16_e32 v38, 0x3b9c, v79
	v_fmac_f16_e32 v70, v16, v56
	;; [unrolled: 1-line block ×3, first 2 shown]
	v_add_f16_e32 v16, v34, v37
	v_fmamk_f16 v34, v97, 0x3b9c, v58
	v_fmac_f16_e32 v58, 0xbb9c, v97
	v_add_f16_e32 v13, v41, v44
	v_add_f16_e32 v57, v50, v52
	v_fmac_f16_e32 v24, 0x38b4, v87
	v_fmac_f16_e32 v10, 0xb8b4, v87
	;; [unrolled: 1-line block ×6, first 2 shown]
	v_add_f16_e32 v40, v93, v95
	v_add_f16_e32 v68, v103, v104
	v_sub_f16_e32 v84, v47, v69
	v_add_f16_e32 v87, v69, v101
	v_sub_f16_e32 v89, v72, v45
	v_sub_f16_e32 v95, v60, v72
	;; [unrolled: 1-line block ×3, first 2 shown]
	v_add_f16_e32 v103, v47, v48
	v_add_f16_e32 v72, v72, v77
	;; [unrolled: 1-line block ×3, first 2 shown]
	v_fmac_f16_e32 v106, v15, v54
	v_fma_f16 v44, -0.5, v99, v77
	v_sub_f16_e32 v55, v49, v50
	v_sub_f16_e32 v56, v51, v52
	v_fmac_f16_e32 v71, 0xb8b4, v83
	v_fmac_f16_e32 v38, 0x38b4, v83
	v_add_f16_e32 v15, v33, v5
	v_add_f16_e32 v5, v32, v59
	v_sub_f16_e32 v59, v66, v70
	v_fmac_f16_e32 v34, 0x38b4, v98
	v_fmac_f16_e32 v58, 0xb8b4, v98
	v_add_f16_e32 v42, v42, v13
	s_waitcnt lgkmcnt(0)
	v_fma_f16 v13, -0.5, v57, v78
	v_sub_f16_e32 v96, v46, v45
	v_fmamk_f16 v33, v90, 0xbb9c, v36
	v_fmac_f16_e32 v36, 0x3b9c, v90
	v_fma_f16 v41, -0.5, v87, v12
	v_fma_f16 v54, -0.5, v103, v12
	v_add_f16_e32 v12, v60, v72
	v_add_f16_e32 v47, v47, v69
	;; [unrolled: 1-line block ×3, first 2 shown]
	v_fmamk_f16 v73, v83, 0x3b9c, v44
	v_fmac_f16_e32 v44, 0xbb9c, v83
	v_fmac_f16_e32 v71, 0x34f2, v14
	;; [unrolled: 1-line block ×3, first 2 shown]
	v_add_f16_e32 v14, v55, v56
	v_sub_f16_e32 v56, v106, v66
	v_sub_f16_e32 v57, v107, v70
	;; [unrolled: 1-line block ×4, first 2 shown]
	v_fmac_f16_e32 v34, 0x34f2, v40
	v_fmac_f16_e32 v58, 0x34f2, v40
	v_fmamk_f16 v40, v59, 0xbb9c, v13
	v_fmac_f16_e32 v13, 0x3b9c, v59
	v_sub_f16_e32 v86, v48, v101
	v_add_f16_e32 v43, v95, v96
	v_sub_f16_e32 v69, v49, v51
	v_fmac_f16_e32 v33, 0xb8b4, v91
	v_fmac_f16_e32 v36, 0x38b4, v91
	v_add_f16_e32 v65, v65, v5
	v_fmamk_f16 v72, v89, 0x3b9c, v41
	v_add_f16_e32 v5, v46, v12
	v_fmac_f16_e32 v41, 0xbb9c, v89
	v_add_f16_e32 v12, v47, v101
	v_fma_f16 v46, -0.5, v67, v11
	v_fmac_f16_e32 v73, 0xb8b4, v79
	v_fmac_f16_e32 v44, 0x38b4, v79
	v_add_f16_e32 v56, v56, v57
	v_mul_hi_u32 v57, 0xa01a01a1, v9
	v_fmac_f16_e32 v40, 0xb8b4, v60
	v_fmac_f16_e32 v13, 0x38b4, v60
	v_sub_f16_e32 v102, v101, v48
	v_fmac_f16_e32 v24, 0x34f2, v39
	v_fmac_f16_e32 v10, 0x34f2, v39
	;; [unrolled: 1-line block ×4, first 2 shown]
	v_add_f16_e32 v39, v84, v86
	v_sub_f16_e32 v61, v66, v106
	v_sub_f16_e32 v64, v70, v107
	v_fmac_f16_e32 v33, 0x34f2, v35
	v_fmac_f16_e32 v36, 0x34f2, v35
	;; [unrolled: 1-line block ×3, first 2 shown]
	v_add_f16_e32 v35, v45, v5
	v_fmac_f16_e32 v41, 0xb8b4, v93
	v_fmamk_f16 v45, v69, 0x3b9c, v46
	v_fmac_f16_e32 v73, 0x34f2, v43
	v_fmac_f16_e32 v44, 0x34f2, v43
	v_sub_f16_e32 v5, v50, v52
	v_add_f16_e32 v43, v49, v51
	v_add_f16_e32 v47, v48, v12
	v_sub_f16_e32 v48, v50, v49
	v_fmac_f16_e32 v46, 0xbb9c, v69
	v_add_f16_e32 v49, v49, v78
	v_fmac_f16_e32 v26, 0x34f2, v74
	v_fmac_f16_e32 v7, 0x34f2, v74
	v_fmamk_f16 v74, v93, 0xbb9c, v54
	v_fmac_f16_e32 v54, 0x3b9c, v93
	v_fmac_f16_e32 v40, 0x34f2, v14
	;; [unrolled: 1-line block ×3, first 2 shown]
	v_sub_nc_u32_e32 v14, v9, v57
	v_fmac_f16_e32 v72, 0x34f2, v39
	v_fmac_f16_e32 v41, 0x34f2, v39
	v_add_f16_e32 v39, v61, v64
	v_fmac_f16_e32 v45, 0x38b4, v5
	v_fmac_f16_e32 v46, 0xb8b4, v5
	v_add_f16_e32 v49, v50, v49
	v_add_nc_u32_e32 v50, 63, v9
	v_add_f16_e32 v53, v100, v102
	v_fmac_f16_e32 v74, 0x38b4, v89
	v_fmac_f16_e32 v54, 0xb8b4, v89
	v_add_f16_e32 v12, v66, v70
	v_lshrrev_b32_e32 v14, 1, v14
	v_fmac_f16_e32 v45, 0x34f2, v39
	v_fmac_f16_e32 v46, 0x34f2, v39
	v_add_f16_e32 v39, v52, v49
	v_mul_hi_u32 v49, 0xa01a01a1, v50
	v_fmac_f16_e32 v74, 0x34f2, v53
	v_fmac_f16_e32 v54, 0x34f2, v53
	v_sub_f16_e32 v53, v52, v51
	v_fma_f16 v12, -0.5, v12, v11
	v_add_nc_u32_e32 v14, v14, v57
	v_fma_f16 v43, -0.5, v43, v78
	v_add_f16_e32 v11, v11, v66
	v_add_f16_e32 v48, v48, v53
	v_fmamk_f16 v53, v5, 0x3b9c, v12
	v_fmac_f16_e32 v12, 0xbb9c, v5
	v_lshrrev_b32_e32 v5, 8, v14
	v_sub_nc_u32_e32 v14, v50, v49
	v_fmamk_f16 v55, v60, 0xbb9c, v43
	v_fmac_f16_e32 v43, 0x3b9c, v60
	v_add_f16_e32 v11, v11, v106
	v_mul_u32_u24_e32 v5, 0x13b, v5
	v_lshrrev_b32_e32 v14, 1, v14
	v_fmac_f16_e32 v55, 0x38b4, v59
	v_fmac_f16_e32 v43, 0xb8b4, v59
	v_add_f16_e32 v11, v11, v107
	v_sub_nc_u32_e32 v5, v9, v5
	v_add_nc_u32_e32 v14, v14, v49
	v_fmac_f16_e32 v55, 0x34f2, v48
	v_fmac_f16_e32 v43, 0x34f2, v48
	v_add_co_u32 v48, vcc_lo, v3, v1
	v_lshrrev_b32_e32 v14, 8, v14
	v_lshlrev_b32_e32 v5, 2, v5
	v_add_f16_e32 v39, v51, v39
	v_add_f16_e32 v11, v70, v11
	v_add_co_ci_u32_e32 v49, vcc_lo, v4, v2, vcc_lo
	v_mul_u32_u24_e32 v3, 0x13b, v14
	v_fmac_f16_e32 v53, 0xb8b4, v69
	v_fmac_f16_e32 v12, 0x38b4, v69
	v_add_co_u32 v1, vcc_lo, v48, v5
	v_add_co_ci_u32_e32 v2, vcc_lo, 0, v49, vcc_lo
	v_pack_b32_f16 v5, v11, v39
	v_sub_nc_u32_e32 v39, v50, v3
	v_fmac_f16_e32 v53, 0x34f2, v56
	v_fmac_f16_e32 v12, 0x34f2, v56
	v_add_co_u32 v3, vcc_lo, 0x800, v1
	global_store_dword v[1:2], v5, off
	v_mad_u32_u24 v5, 0x627, v14, v39
	v_pack_b32_f16 v39, v45, v40
	v_add_nc_u32_e32 v40, 0x7e, v9
	v_pack_b32_f16 v11, v46, v13
	v_pack_b32_f16 v13, v53, v55
	v_add_co_ci_u32_e32 v4, vcc_lo, 0, v2, vcc_lo
	v_pack_b32_f16 v12, v12, v43
	v_mul_hi_u32 v43, 0xa01a01a1, v40
	global_store_dword v[1:2], v11, off offset:1260
	global_store_dword v[3:4], v13, off offset:472
	;; [unrolled: 1-line block ×3, first 2 shown]
	v_lshlrev_b64 v[3:4], 2, v[5:6]
	v_add_co_u32 v1, vcc_lo, 0x1000, v1
	v_add_co_ci_u32_e32 v2, vcc_lo, 0, v2, vcc_lo
	v_add_nc_u32_e32 v11, 0x13b, v5
	v_add_co_u32 v3, vcc_lo, v48, v3
	v_mov_b32_e32 v12, v6
	v_add_nc_u32_e32 v13, 0x276, v5
	v_mov_b32_e32 v14, v6
	v_sub_nc_u32_e32 v45, v40, v43
	v_add_co_ci_u32_e32 v4, vcc_lo, v49, v4, vcc_lo
	v_pack_b32_f16 v35, v47, v35
	v_lshlrev_b64 v[11:12], 2, v[11:12]
	global_store_dword v[1:2], v39, off offset:944
	global_store_dword v[3:4], v35, off
	v_lshlrev_b64 v[1:2], 2, v[13:14]
	v_lshrrev_b32_e32 v13, 1, v45
	v_add_co_u32 v3, vcc_lo, v48, v11
	v_add_co_ci_u32_e32 v4, vcc_lo, v49, v12, vcc_lo
	v_add_nc_u32_e32 v11, v13, v43
	v_add_co_u32 v1, vcc_lo, v48, v1
	v_add_co_ci_u32_e32 v2, vcc_lo, v49, v2, vcc_lo
	v_lshrrev_b32_e32 v13, 8, v11
	v_pack_b32_f16 v35, v54, v44
	v_pack_b32_f16 v14, v41, v38
	v_add_nc_u32_e32 v11, 0x3b1, v5
	v_mov_b32_e32 v12, v6
	v_add_nc_u32_e32 v5, 0x4ec, v5
	v_mul_u32_u24_e32 v38, 0x13b, v13
	global_store_dword v[1:2], v35, off
	v_add_nc_u32_e32 v35, 0xbd, v9
	global_store_dword v[3:4], v14, off
	v_lshlrev_b64 v[3:4], 2, v[11:12]
	v_lshlrev_b64 v[1:2], 2, v[5:6]
	v_sub_nc_u32_e32 v5, v40, v38
	v_mul_hi_u32 v39, 0xa01a01a1, v35
	v_pack_b32_f16 v38, v74, v73
	v_pack_b32_f16 v40, v72, v71
	v_add_co_u32 v3, vcc_lo, v48, v3
	v_mad_u32_u24 v5, 0x627, v13, v5
	v_add_co_ci_u32_e32 v4, vcc_lo, v49, v4, vcc_lo
	v_add_co_u32 v1, vcc_lo, v48, v1
	v_add_nc_u32_e32 v11, 0x13b, v5
	v_sub_nc_u32_e32 v41, v35, v39
	v_add_co_ci_u32_e32 v2, vcc_lo, v49, v2, vcc_lo
	global_store_dword v[3:4], v38, off
	global_store_dword v[1:2], v40, off
	v_lshlrev_b64 v[1:2], 2, v[11:12]
	v_lshrrev_b32_e32 v11, 1, v41
	v_lshlrev_b64 v[13:14], 2, v[5:6]
	v_pack_b32_f16 v38, v42, v65
	v_fma_f16 v17, -0.5, v105, v17
	v_pack_b32_f16 v36, v58, v36
	v_add_nc_u32_e32 v12, v11, v39
	v_add_nc_u32_e32 v11, 0x276, v5
	v_add_co_u32 v3, vcc_lo, v48, v13
	v_add_co_ci_u32_e32 v4, vcc_lo, v49, v14, vcc_lo
	v_lshrrev_b32_e32 v39, 8, v12
	v_add_co_u32 v1, vcc_lo, v48, v1
	v_add_co_ci_u32_e32 v2, vcc_lo, v49, v2, vcc_lo
	v_add_nc_u32_e32 v13, 0x3b1, v5
	v_mov_b32_e32 v14, v6
	global_store_dword v[3:4], v38, off
	v_mul_u32_u24_e32 v38, 0x13b, v39
	v_mov_b32_e32 v12, v6
	v_fmamk_f16 v37, v91, 0x3b9c, v63
	v_fmac_f16_e32 v63, 0xbb9c, v91
	v_fmamk_f16 v32, v98, 0xbb9c, v17
	v_fmac_f16_e32 v17, 0x3b9c, v98
	global_store_dword v[1:2], v36, off
	v_lshlrev_b64 v[1:2], 2, v[13:14]
	v_add_nc_u32_e32 v5, 0x4ec, v5
	v_sub_nc_u32_e32 v13, v35, v38
	v_lshlrev_b64 v[3:4], 2, v[11:12]
	v_fmac_f16_e32 v63, 0x38b4, v90
	v_fmac_f16_e32 v17, 0xb8b4, v97
	v_lshlrev_b64 v[11:12], 2, v[5:6]
	v_mad_u32_u24 v5, 0x627, v39, v13
	v_fmac_f16_e32 v37, 0xb8b4, v90
	v_fmac_f16_e32 v32, 0x38b4, v97
	v_add_co_u32 v3, vcc_lo, v48, v3
	v_add_nc_u32_e32 v9, 0xfc, v9
	v_add_co_ci_u32_e32 v4, vcc_lo, v49, v4, vcc_lo
	v_fmac_f16_e32 v63, 0x34f2, v62
	v_fmac_f16_e32 v17, 0x34f2, v68
	v_add_co_u32 v1, vcc_lo, v48, v1
	v_lshlrev_b64 v[13:14], 2, v[5:6]
	v_fmac_f16_e32 v37, 0x34f2, v62
	v_fmac_f16_e32 v32, 0x34f2, v68
	v_add_co_ci_u32_e32 v2, vcc_lo, v49, v2, vcc_lo
	v_mul_hi_u32 v35, 0xa01a01a1, v9
	v_add_co_u32 v11, vcc_lo, v48, v11
	v_pack_b32_f16 v17, v17, v63
	v_add_co_ci_u32_e32 v12, vcc_lo, v49, v12, vcc_lo
	v_pack_b32_f16 v32, v32, v37
	v_add_co_u32 v13, vcc_lo, v48, v13
	v_pack_b32_f16 v33, v34, v33
	v_add_co_ci_u32_e32 v14, vcc_lo, v49, v14, vcc_lo
	v_pack_b32_f16 v34, v16, v15
	global_store_dword v[3:4], v17, off
	global_store_dword v[1:2], v32, off
	;; [unrolled: 1-line block ×4, first 2 shown]
	v_sub_nc_u32_e32 v13, v9, v35
	v_add_nc_u32_e32 v15, 0x13b, v5
	v_mov_b32_e32 v16, v6
	v_add_nc_u32_e32 v3, 0x276, v5
	v_mov_b32_e32 v4, v6
	v_lshrrev_b32_e32 v13, 1, v13
	v_fmamk_f16 v30, v88, 0x3b9c, v27
	v_fmamk_f16 v31, v92, 0xbb9c, v23
	v_lshlrev_b64 v[1:2], 2, v[15:16]
	v_add_nc_u32_e32 v11, 0x3b1, v5
	v_add_nc_u32_e32 v13, v13, v35
	;; [unrolled: 1-line block ×3, first 2 shown]
	v_fmamk_f16 v21, v85, 0x3b9c, v28
	v_fmamk_f16 v22, v94, 0xbb9c, v29
	v_fmac_f16_e32 v28, 0xbb9c, v85
	v_lshrrev_b32_e32 v16, 8, v13
	v_fmac_f16_e32 v29, 0x3b9c, v94
	v_mov_b32_e32 v12, v6
	v_fmac_f16_e32 v27, 0xbb9c, v88
	v_fmac_f16_e32 v23, 0x3b9c, v92
	v_lshlrev_b64 v[3:4], 2, v[3:4]
	v_fmac_f16_e32 v30, 0x38b4, v85
	v_fmac_f16_e32 v31, 0xb8b4, v94
	v_lshlrev_b64 v[13:14], 2, v[5:6]
	v_mul_u32_u24_e32 v5, 0x13b, v16
	v_fmac_f16_e32 v28, 0x38b4, v88
	v_fmac_f16_e32 v29, 0xb8b4, v92
	;; [unrolled: 1-line block ×4, first 2 shown]
	v_add_co_u32 v1, vcc_lo, v48, v1
	v_lshlrev_b64 v[11:12], 2, v[11:12]
	v_fmac_f16_e32 v27, 0xb8b4, v85
	v_fmac_f16_e32 v23, 0x38b4, v94
	v_add_co_ci_u32_e32 v2, vcc_lo, v49, v2, vcc_lo
	v_fmac_f16_e32 v30, 0x34f2, v82
	v_fmac_f16_e32 v31, 0x34f2, v75
	v_add_co_u32 v3, vcc_lo, v48, v3
	v_sub_nc_u32_e32 v5, v9, v5
	v_fmac_f16_e32 v28, 0x34f2, v80
	v_fmac_f16_e32 v29, 0x34f2, v81
	;; [unrolled: 1-line block ×4, first 2 shown]
	v_add_co_ci_u32_e32 v4, vcc_lo, v49, v4, vcc_lo
	v_fmac_f16_e32 v27, 0x34f2, v82
	v_fmac_f16_e32 v23, 0x34f2, v75
	v_add_co_u32 v11, vcc_lo, v48, v11
	v_pack_b32_f16 v15, v31, v30
	v_add_co_ci_u32_e32 v12, vcc_lo, v49, v12, vcc_lo
	v_mad_u32_u24 v5, 0x627, v16, v5
	v_pack_b32_f16 v17, v29, v28
	v_add_co_u32 v13, vcc_lo, v48, v13
	v_pack_b32_f16 v21, v22, v21
	v_add_co_ci_u32_e32 v14, vcc_lo, v49, v14, vcc_lo
	v_pack_b32_f16 v9, v23, v27
	global_store_dword v[1:2], v15, off
	global_store_dword v[3:4], v17, off
	;; [unrolled: 1-line block ×4, first 2 shown]
	v_add_nc_u32_e32 v3, 0x13b, v5
	v_mov_b32_e32 v4, v6
	v_lshlrev_b64 v[1:2], 2, v[5:6]
	v_add_nc_u32_e32 v11, 0x276, v5
	v_mov_b32_e32 v12, v6
	v_add_nc_u32_e32 v13, 0x3b1, v5
	v_lshlrev_b64 v[3:4], 2, v[3:4]
	v_mov_b32_e32 v14, v6
	v_add_co_u32 v1, vcc_lo, v48, v1
	v_lshlrev_b64 v[11:12], 2, v[11:12]
	v_add_nc_u32_e32 v5, 0x4ec, v5
	v_add_co_ci_u32_e32 v2, vcc_lo, v49, v2, vcc_lo
	v_add_co_u32 v3, vcc_lo, v48, v3
	v_lshlrev_b64 v[13:14], 2, v[13:14]
	v_add_co_ci_u32_e32 v4, vcc_lo, v49, v4, vcc_lo
	v_add_co_u32 v11, vcc_lo, v48, v11
	v_lshlrev_b64 v[5:6], 2, v[5:6]
	v_add_co_ci_u32_e32 v12, vcc_lo, v49, v12, vcc_lo
	v_pack_b32_f16 v10, v10, v8
	v_add_co_u32 v8, vcc_lo, v48, v13
	v_pack_b32_f16 v15, v19, v18
	v_pack_b32_f16 v16, v26, v25
	v_add_co_ci_u32_e32 v9, vcc_lo, v49, v14, vcc_lo
	v_add_co_u32 v5, vcc_lo, v48, v5
	v_pack_b32_f16 v13, v24, v20
	v_add_co_ci_u32_e32 v6, vcc_lo, v49, v6, vcc_lo
	v_pack_b32_f16 v0, v7, v0
	global_store_dword v[1:2], v15, off
	global_store_dword v[3:4], v16, off
	;; [unrolled: 1-line block ×5, first 2 shown]
.LBB0_37:
	s_endpgm
	.section	.rodata,"a",@progbits
	.p2align	6, 0x0
	.amdhsa_kernel fft_rtc_back_len1575_factors_3_3_5_7_5_wgs_63_tpt_63_halfLds_half_op_CI_CI_unitstride_sbrr_dirReg
		.amdhsa_group_segment_fixed_size 0
		.amdhsa_private_segment_fixed_size 0
		.amdhsa_kernarg_size 104
		.amdhsa_user_sgpr_count 6
		.amdhsa_user_sgpr_private_segment_buffer 1
		.amdhsa_user_sgpr_dispatch_ptr 0
		.amdhsa_user_sgpr_queue_ptr 0
		.amdhsa_user_sgpr_kernarg_segment_ptr 1
		.amdhsa_user_sgpr_dispatch_id 0
		.amdhsa_user_sgpr_flat_scratch_init 0
		.amdhsa_user_sgpr_private_segment_size 0
		.amdhsa_wavefront_size32 1
		.amdhsa_uses_dynamic_stack 0
		.amdhsa_system_sgpr_private_segment_wavefront_offset 0
		.amdhsa_system_sgpr_workgroup_id_x 1
		.amdhsa_system_sgpr_workgroup_id_y 0
		.amdhsa_system_sgpr_workgroup_id_z 0
		.amdhsa_system_sgpr_workgroup_info 0
		.amdhsa_system_vgpr_workitem_id 0
		.amdhsa_next_free_vgpr 126
		.amdhsa_next_free_sgpr 27
		.amdhsa_reserve_vcc 1
		.amdhsa_reserve_flat_scratch 0
		.amdhsa_float_round_mode_32 0
		.amdhsa_float_round_mode_16_64 0
		.amdhsa_float_denorm_mode_32 3
		.amdhsa_float_denorm_mode_16_64 3
		.amdhsa_dx10_clamp 1
		.amdhsa_ieee_mode 1
		.amdhsa_fp16_overflow 0
		.amdhsa_workgroup_processor_mode 1
		.amdhsa_memory_ordered 1
		.amdhsa_forward_progress 0
		.amdhsa_shared_vgpr_count 0
		.amdhsa_exception_fp_ieee_invalid_op 0
		.amdhsa_exception_fp_denorm_src 0
		.amdhsa_exception_fp_ieee_div_zero 0
		.amdhsa_exception_fp_ieee_overflow 0
		.amdhsa_exception_fp_ieee_underflow 0
		.amdhsa_exception_fp_ieee_inexact 0
		.amdhsa_exception_int_div_zero 0
	.end_amdhsa_kernel
	.text
.Lfunc_end0:
	.size	fft_rtc_back_len1575_factors_3_3_5_7_5_wgs_63_tpt_63_halfLds_half_op_CI_CI_unitstride_sbrr_dirReg, .Lfunc_end0-fft_rtc_back_len1575_factors_3_3_5_7_5_wgs_63_tpt_63_halfLds_half_op_CI_CI_unitstride_sbrr_dirReg
                                        ; -- End function
	.section	.AMDGPU.csdata,"",@progbits
; Kernel info:
; codeLenInByte = 17616
; NumSgprs: 29
; NumVgprs: 126
; ScratchSize: 0
; MemoryBound: 0
; FloatMode: 240
; IeeeMode: 1
; LDSByteSize: 0 bytes/workgroup (compile time only)
; SGPRBlocks: 3
; VGPRBlocks: 15
; NumSGPRsForWavesPerEU: 29
; NumVGPRsForWavesPerEU: 126
; Occupancy: 8
; WaveLimiterHint : 1
; COMPUTE_PGM_RSRC2:SCRATCH_EN: 0
; COMPUTE_PGM_RSRC2:USER_SGPR: 6
; COMPUTE_PGM_RSRC2:TRAP_HANDLER: 0
; COMPUTE_PGM_RSRC2:TGID_X_EN: 1
; COMPUTE_PGM_RSRC2:TGID_Y_EN: 0
; COMPUTE_PGM_RSRC2:TGID_Z_EN: 0
; COMPUTE_PGM_RSRC2:TIDIG_COMP_CNT: 0
	.text
	.p2alignl 6, 3214868480
	.fill 48, 4, 3214868480
	.type	__hip_cuid_867285e22f15e61c,@object ; @__hip_cuid_867285e22f15e61c
	.section	.bss,"aw",@nobits
	.globl	__hip_cuid_867285e22f15e61c
__hip_cuid_867285e22f15e61c:
	.byte	0                               ; 0x0
	.size	__hip_cuid_867285e22f15e61c, 1

	.ident	"AMD clang version 19.0.0git (https://github.com/RadeonOpenCompute/llvm-project roc-6.4.0 25133 c7fe45cf4b819c5991fe208aaa96edf142730f1d)"
	.section	".note.GNU-stack","",@progbits
	.addrsig
	.addrsig_sym __hip_cuid_867285e22f15e61c
	.amdgpu_metadata
---
amdhsa.kernels:
  - .args:
      - .actual_access:  read_only
        .address_space:  global
        .offset:         0
        .size:           8
        .value_kind:     global_buffer
      - .offset:         8
        .size:           8
        .value_kind:     by_value
      - .actual_access:  read_only
        .address_space:  global
        .offset:         16
        .size:           8
        .value_kind:     global_buffer
      - .actual_access:  read_only
        .address_space:  global
        .offset:         24
        .size:           8
        .value_kind:     global_buffer
      - .actual_access:  read_only
        .address_space:  global
        .offset:         32
        .size:           8
        .value_kind:     global_buffer
      - .offset:         40
        .size:           8
        .value_kind:     by_value
      - .actual_access:  read_only
        .address_space:  global
        .offset:         48
        .size:           8
        .value_kind:     global_buffer
      - .actual_access:  read_only
        .address_space:  global
        .offset:         56
        .size:           8
        .value_kind:     global_buffer
      - .offset:         64
        .size:           4
        .value_kind:     by_value
      - .actual_access:  read_only
        .address_space:  global
        .offset:         72
        .size:           8
        .value_kind:     global_buffer
      - .actual_access:  read_only
        .address_space:  global
        .offset:         80
        .size:           8
        .value_kind:     global_buffer
      - .actual_access:  read_only
        .address_space:  global
        .offset:         88
        .size:           8
        .value_kind:     global_buffer
      - .actual_access:  write_only
        .address_space:  global
        .offset:         96
        .size:           8
        .value_kind:     global_buffer
    .group_segment_fixed_size: 0
    .kernarg_segment_align: 8
    .kernarg_segment_size: 104
    .language:       OpenCL C
    .language_version:
      - 2
      - 0
    .max_flat_workgroup_size: 63
    .name:           fft_rtc_back_len1575_factors_3_3_5_7_5_wgs_63_tpt_63_halfLds_half_op_CI_CI_unitstride_sbrr_dirReg
    .private_segment_fixed_size: 0
    .sgpr_count:     29
    .sgpr_spill_count: 0
    .symbol:         fft_rtc_back_len1575_factors_3_3_5_7_5_wgs_63_tpt_63_halfLds_half_op_CI_CI_unitstride_sbrr_dirReg.kd
    .uniform_work_group_size: 1
    .uses_dynamic_stack: false
    .vgpr_count:     126
    .vgpr_spill_count: 0
    .wavefront_size: 32
    .workgroup_processor_mode: 1
amdhsa.target:   amdgcn-amd-amdhsa--gfx1030
amdhsa.version:
  - 1
  - 2
...

	.end_amdgpu_metadata
